;; amdgpu-corpus repo=ROCm/rocFFT kind=compiled arch=gfx1100 opt=O3
	.text
	.amdgcn_target "amdgcn-amd-amdhsa--gfx1100"
	.amdhsa_code_object_version 6
	.protected	bluestein_single_fwd_len1575_dim1_sp_op_CI_CI ; -- Begin function bluestein_single_fwd_len1575_dim1_sp_op_CI_CI
	.globl	bluestein_single_fwd_len1575_dim1_sp_op_CI_CI
	.p2align	8
	.type	bluestein_single_fwd_len1575_dim1_sp_op_CI_CI,@function
bluestein_single_fwd_len1575_dim1_sp_op_CI_CI: ; @bluestein_single_fwd_len1575_dim1_sp_op_CI_CI
; %bb.0:
	s_load_b128 s[8:11], s[0:1], 0x28
	v_mul_u32_u24_e32 v1, 0x411, v0
	s_mov_b32 s2, exec_lo
	v_mov_b32_e32 v220, 0
	s_delay_alu instid0(VALU_DEP_2) | instskip(NEXT) | instid1(VALU_DEP_1)
	v_lshrrev_b32_e32 v1, 16, v1
	v_add_nc_u32_e32 v219, s15, v1
	s_waitcnt lgkmcnt(0)
	s_delay_alu instid0(VALU_DEP_1)
	v_cmpx_gt_u64_e64 s[8:9], v[219:220]
	s_cbranch_execz .LBB0_31
; %bb.1:
	s_clause 0x1
	s_load_b128 s[4:7], s[0:1], 0x18
	s_load_b64 s[2:3], s[0:1], 0x0
	v_mul_lo_u16 v1, v1, 63
	s_delay_alu instid0(VALU_DEP_1)
	v_sub_nc_u16 v2, v0, v1
	s_waitcnt lgkmcnt(0)
	s_load_b128 s[12:15], s[4:5], 0x0
	s_waitcnt lgkmcnt(0)
	v_mad_u64_u32 v[0:1], null, s14, v219, 0
	s_mul_hi_u32 s5, s12, 0x20d
	s_mul_hi_u32 s9, s12, 0xfffffc25
	s_mul_i32 s8, s13, 0xfffffc25
	s_delay_alu instid0(VALU_DEP_1) | instskip(NEXT) | instid1(VALU_DEP_1)
	v_mad_u64_u32 v[7:8], null, s15, v219, v[1:2]
	v_dual_mov_b32 v1, v7 :: v_dual_and_b32 v242, 0xffff, v2
	s_delay_alu instid0(VALU_DEP_1) | instskip(NEXT) | instid1(VALU_DEP_2)
	v_mad_u64_u32 v[5:6], null, s12, v242, 0
	v_lshlrev_b64 v[0:1], 3, v[0:1]
	s_delay_alu instid0(VALU_DEP_2) | instskip(NEXT) | instid1(VALU_DEP_1)
	v_mad_u64_u32 v[8:9], null, s13, v242, v[6:7]
	v_dual_mov_b32 v6, v8 :: v_dual_lshlrev_b32 v255, 3, v242
	s_delay_alu instid0(VALU_DEP_1) | instskip(NEXT) | instid1(VALU_DEP_1)
	v_add_co_u32 v212, s4, s2, v255
	v_add_co_ci_u32_e64 v213, null, s3, 0, s4
	s_delay_alu instid0(VALU_DEP_3) | instskip(NEXT) | instid1(VALU_DEP_3)
	v_lshlrev_b64 v[5:6], 3, v[5:6]
	v_add_co_u32 v3, vcc_lo, 0x1000, v212
	s_delay_alu instid0(VALU_DEP_3)
	v_add_co_ci_u32_e32 v4, vcc_lo, 0, v213, vcc_lo
	v_add_co_u32 v214, vcc_lo, 0x2000, v212
	v_add_co_ci_u32_e32 v215, vcc_lo, 0, v213, vcc_lo
	v_add_co_u32 v0, vcc_lo, s10, v0
	v_add_co_ci_u32_e32 v1, vcc_lo, s11, v1, vcc_lo
	s_clause 0x7
	global_load_b64 v[62:63], v255, s[2:3]
	global_load_b64 v[93:94], v255, s[2:3] offset:504
	global_load_b64 v[91:92], v255, s[2:3] offset:1008
	;; [unrolled: 1-line block ×7, first 2 shown]
	s_mul_i32 s3, s13, 0x20d
	v_add_co_u32 v0, vcc_lo, v0, v5
	s_mul_i32 s2, s12, 0x20d
	s_add_i32 s3, s5, s3
	v_add_co_ci_u32_e32 v1, vcc_lo, v1, v6, vcc_lo
	s_lshl_b64 s[10:11], s[2:3], 3
	s_sub_i32 s5, s9, s12
	v_add_co_u32 v5, vcc_lo, v0, s10
	s_delay_alu instid0(VALU_DEP_2) | instskip(SKIP_1) | instid1(VALU_DEP_2)
	v_add_co_ci_u32_e32 v6, vcc_lo, s11, v1, vcc_lo
	s_mul_i32 s4, s12, 0xfffffc25
	v_add_co_u32 v7, vcc_lo, v5, s10
	s_add_i32 s5, s5, s8
	s_delay_alu instid0(VALU_DEP_2)
	v_add_co_ci_u32_e32 v8, vcc_lo, s11, v6, vcc_lo
	s_lshl_b64 s[2:3], s[4:5], 3
	s_clause 0x3
	global_load_b64 v[224:225], v[3:4], off offset:104
	global_load_b64 v[103:104], v[3:4], off offset:608
	;; [unrolled: 1-line block ×4, first 2 shown]
	v_add_co_u32 v9, vcc_lo, v7, s2
	v_add_co_ci_u32_e32 v10, vcc_lo, s3, v8, vcc_lo
	s_clause 0x3
	global_load_b64 v[222:223], v[214:215], off offset:208
	global_load_b64 v[220:221], v[214:215], off offset:712
	;; [unrolled: 1-line block ×4, first 2 shown]
	v_add_co_u32 v11, vcc_lo, v9, s10
	v_add_co_ci_u32_e32 v12, vcc_lo, s11, v10, vcc_lo
	s_clause 0x5
	global_load_b64 v[89:90], v[3:4], off offset:2120
	global_load_b64 v[75:76], v[3:4], off offset:2624
	;; [unrolled: 1-line block ×6, first 2 shown]
	s_clause 0x1
	global_load_b64 v[13:14], v[0:1], off
	global_load_b64 v[17:18], v[5:6], off
	v_add_co_u32 v0, vcc_lo, v11, s10
	v_add_co_ci_u32_e32 v1, vcc_lo, s11, v12, vcc_lo
	s_clause 0x2
	global_load_b64 v[7:8], v[7:8], off
	global_load_b64 v[9:10], v[9:10], off
	;; [unrolled: 1-line block ×3, first 2 shown]
	v_add_co_u32 v5, vcc_lo, v0, s2
	v_add_co_ci_u32_e32 v6, vcc_lo, s3, v1, vcc_lo
	global_load_b64 v[21:22], v[0:1], off
	v_add_co_u32 v0, vcc_lo, v5, s10
	v_add_co_ci_u32_e32 v1, vcc_lo, s11, v6, vcc_lo
	global_load_b64 v[23:24], v[5:6], off
	;; [unrolled: 3-line block ×15, first 2 shown]
	v_add_co_u32 v0, vcc_lo, v5, s2
	global_load_b64 v[51:52], v[5:6], off
	v_add_co_ci_u32_e32 v1, vcc_lo, s3, v6, vcc_lo
	v_add_co_u32 v5, vcc_lo, v0, s10
	v_add_nc_u32_e32 v15, 0x1400, v255
	s_delay_alu instid0(VALU_DEP_3)
	v_add_co_ci_u32_e32 v6, vcc_lo, s11, v1, vcc_lo
	global_load_b64 v[53:54], v[0:1], off
	v_add_co_u32 v0, vcc_lo, v5, s10
	v_add_co_ci_u32_e32 v1, vcc_lo, s11, v6, vcc_lo
	global_load_b64 v[79:80], v[3:4], off offset:3632
	global_load_b64 v[55:56], v[5:6], off
	global_load_b64 v[81:82], v[214:215], off offset:3736
	global_load_b64 v[57:58], v[0:1], off
	v_add_nc_u32_e32 v6, 0x1000, v255
	v_add_nc_u32_e32 v5, 0x2000, v255
	s_load_b64 s[8:9], s[0:1], 0x38
	s_load_b128 s[4:7], s[6:7], 0x0
	v_add_nc_u32_e32 v19, 0x2400, v255
	v_add_nc_u32_e32 v3, 0x800, v255
	v_cmp_gt_u16_e32 vcc_lo, 21, v2
	s_waitcnt vmcnt(47)
	scratch_store_b64 off, v[62:63], off offset:136 ; 8-byte Folded Spill
	s_waitcnt vmcnt(46)
	scratch_store_b64 off, v[93:94], off offset:112 ; 8-byte Folded Spill
	s_waitcnt vmcnt(24)
	v_dual_mul_f32 v60, v13, v63 :: v_dual_mul_f32 v61, v18, v225
	v_mul_f32_e32 v59, v14, v63
	v_add_nc_u32_e32 v16, 0x1800, v255
	v_add_nc_u32_e32 v4, 0x400, v255
	s_delay_alu instid0(VALU_DEP_4)
	v_fma_f32 v60, v14, v62, -v60
	v_mul_f32_e32 v14, v17, v225
	v_fmac_f32_e32 v59, v13, v62
	s_waitcnt vmcnt(22)
	v_mul_f32_e32 v64, v9, v94
	v_fmac_f32_e32 v61, v17, v224
	v_mul_f32_e32 v17, v10, v94
	v_mul_f32_e32 v13, v8, v223
	;; [unrolled: 1-line block ×3, first 2 shown]
	v_fma_f32 v62, v18, v224, -v14
	v_fma_f32 v18, v10, v93, -v64
	s_waitcnt vmcnt(20)
	v_mul_f32_e32 v10, v21, v221
	v_dual_fmac_f32 v17, v9, v93 :: v_dual_add_nc_u32 v20, 0x2800, v255
	v_fmac_f32_e32 v13, v7, v222
	v_mul_f32_e32 v9, v22, v221
	s_delay_alu instid0(VALU_DEP_4) | instskip(SKIP_1) | instid1(VALU_DEP_3)
	v_fma_f32 v10, v22, v220, -v10
	v_mul_f32_e32 v7, v12, v104
	v_fmac_f32_e32 v9, v21, v220
	s_waitcnt vmcnt(16)
	s_delay_alu instid0(VALU_DEP_2)
	v_dual_fmac_f32 v7, v11, v103 :: v_dual_mul_f32 v22, v29, v84
	v_fma_f32 v14, v8, v222, -v63
	ds_store_b64 v255, v[61:62] offset:4200
	ds_store_b64 v255, v[13:14] offset:8400
	ds_store_2addr_b64 v255, v[59:60], v[17:18] offset1:63
	v_mul_f32_e32 v17, v28, v102
	v_mul_f32_e32 v18, v27, v102
	;; [unrolled: 1-line block ×5, first 2 shown]
	v_fmac_f32_e32 v17, v27, v101
	v_fma_f32 v18, v28, v101, -v18
	v_fma_f32 v8, v12, v103, -v8
	v_mul_f32_e32 v12, v23, v92
	v_mul_f32_e32 v14, v25, v100
	;; [unrolled: 1-line block ×3, first 2 shown]
	ds_store_2addr_b64 v5, v[9:10], v[17:18] offset0:89 offset1:152
	s_waitcnt vmcnt(14)
	v_mul_f32_e32 v9, v34, v96
	v_dual_mul_f32 v10, v33, v96 :: v_dual_fmac_f32 v11, v23, v91
	v_fma_f32 v12, v24, v91, -v12
	v_fma_f32 v14, v26, v99, -v14
	s_delay_alu instid0(VALU_DEP_4)
	v_fmac_f32_e32 v9, v33, v95
	s_waitcnt vmcnt(11)
	v_mul_f32_e32 v17, v40, v86
	v_mul_f32_e32 v18, v39, v86
	v_fma_f32 v10, v34, v95, -v10
	v_fma_f32 v22, v30, v83, -v22
	s_clause 0x1
	scratch_store_b64 off, v[91:92], off offset:104
	scratch_store_b64 off, v[95:96], off offset:120
	v_fmac_f32_e32 v17, v39, v85
	v_fma_f32 v18, v40, v85, -v18
	s_clause 0x4
	scratch_store_b64 off, v[99:100], off offset:144
	scratch_store_b64 off, v[101:102], off offset:152
	;; [unrolled: 1-line block ×5, first 2 shown]
	ds_store_2addr_b64 v19, v[9:10], v[17:18] offset0:87 offset1:150
	scratch_store_b64 off, v[97:98], off offset:128 ; 8-byte Folded Spill
	s_waitcnt vmcnt(8)
	v_mul_f32_e32 v10, v45, v78
	v_fmac_f32_e32 v13, v25, v99
	v_mul_f32_e32 v9, v46, v78
	s_clause 0x1
	scratch_store_b64 off, v[87:88], off offset:88
	scratch_store_b64 off, v[89:90], off offset:96
	v_fma_f32 v10, v46, v77, -v10
	s_clause 0x1
	scratch_store_b64 off, v[69:70], off offset:16
	scratch_store_b64 off, v[71:72], off offset:24
	v_fmac_f32_e32 v9, v45, v77
	s_clause 0x3
	scratch_store_b64 off, v[75:76], off offset:40
	scratch_store_b64 off, v[77:78], off offset:48
	scratch_store_b64 off, v[67:68], off offset:8
	scratch_store_b64 off, v[65:66], off
	s_waitcnt vmcnt(5)
	v_dual_mul_f32 v18, v51, v74 :: v_dual_fmac_f32 v21, v29, v83
	v_mul_f32_e32 v17, v52, v74
	scratch_store_b64 off, v[73:74], off offset:32 ; 8-byte Folded Spill
	v_fma_f32 v18, v52, v73, -v18
	ds_store_2addr_b64 v255, v[11:12], v[21:22] offset0:126 offset1:189
	v_mul_f32_e32 v11, v36, v88
	v_mul_f32_e32 v12, v35, v88
	ds_store_2addr_b64 v6, v[7:8], v[13:14] offset0:76 offset1:139
	v_mul_f32_e32 v7, v32, v98
	v_mul_f32_e32 v8, v31, v98
	;; [unrolled: 1-line block ×5, first 2 shown]
	v_dual_mul_f32 v22, v41, v70 :: v_dual_fmac_f32 v7, v31, v97
	v_fma_f32 v8, v32, v97, -v8
	v_fmac_f32_e32 v11, v35, v87
	v_fma_f32 v12, v36, v87, -v12
	v_fmac_f32_e32 v13, v37, v89
	;; [unrolled: 2-line block ×4, first 2 shown]
	s_waitcnt vmcnt(3)
	scratch_store_b64 off, v[79:80], off offset:56 ; 8-byte Folded Spill
	ds_store_2addr_b64 v15, v[7:8], v[13:14] offset0:74 offset1:137
	v_mul_f32_e32 v7, v44, v76
	v_mul_f32_e32 v8, v43, v76
	ds_store_2addr_b64 v4, v[11:12], v[21:22] offset0:124 offset1:187
	v_mul_f32_e32 v13, v50, v72
	v_dual_mul_f32 v12, v49, v72 :: v_dual_fmac_f32 v7, v43, v75
	v_fma_f32 v8, v44, v75, -v8
	v_mul_f32_e32 v15, v47, v68
	s_delay_alu instid0(VALU_DEP_4) | instskip(NEXT) | instid1(VALU_DEP_4)
	v_fmac_f32_e32 v13, v49, v71
	v_fma_f32 v14, v50, v71, -v12
	v_mul_f32_e32 v11, v48, v68
	v_mul_f32_e32 v21, v54, v66
	v_fma_f32 v12, v48, v67, -v15
	s_waitcnt vmcnt(0)
	v_mul_f32_e32 v15, v57, v82
	ds_store_2addr_b64 v16, v[7:8], v[13:14] offset0:72 offset1:135
	v_mul_f32_e32 v14, v55, v80
	v_dual_mul_f32 v8, v53, v66 :: v_dual_mul_f32 v7, v56, v80
	v_mul_f32_e32 v13, v58, v82
	v_fmac_f32_e32 v11, v47, v67
	v_fmac_f32_e32 v21, v53, v65
	s_delay_alu instid0(VALU_DEP_4)
	v_fma_f32 v22, v54, v65, -v8
	v_fmac_f32_e32 v7, v55, v79
	v_fma_f32 v8, v56, v79, -v14
	v_fmac_f32_e32 v13, v57, v81
	v_fma_f32 v14, v58, v81, -v15
	scratch_store_b64 off, v[81:82], off offset:64 ; 8-byte Folded Spill
	ds_store_2addr_b64 v20, v[9:10], v[17:18] offset0:85 offset1:148
	ds_store_2addr_b64 v3, v[11:12], v[21:22] offset0:122 offset1:185
	ds_store_b64 v255, v[7:8] offset:7728
	ds_store_b64 v255, v[13:14] offset:11928
	s_and_saveexec_b32 s12, vcc_lo
	s_cbranch_execz .LBB0_3
; %bb.2:
	v_add_co_u32 v0, s2, v0, s2
	s_delay_alu instid0(VALU_DEP_1) | instskip(SKIP_3) | instid1(VALU_DEP_1)
	v_add_co_ci_u32_e64 v1, s2, s3, v1, s2
	global_load_b64 v[7:8], v[212:213], off offset:4032
	global_load_b64 v[9:10], v[0:1], off
	v_add_co_u32 v0, s2, v0, s10
	v_add_co_ci_u32_e64 v1, s2, s11, v1, s2
	v_add_co_u32 v11, s2, 0x3000, v212
	s_delay_alu instid0(VALU_DEP_1) | instskip(NEXT) | instid1(VALU_DEP_4)
	v_add_co_ci_u32_e64 v12, s2, 0, v213, s2
	v_add_co_u32 v13, s2, v0, s10
	s_delay_alu instid0(VALU_DEP_1)
	v_add_co_ci_u32_e64 v14, s2, s11, v1, s2
	global_load_b64 v[0:1], v[0:1], off
	s_clause 0x1
	global_load_b64 v[17:18], v[214:215], off offset:40
	global_load_b64 v[11:12], v[11:12], off offset:144
	global_load_b64 v[13:14], v[13:14], off
	s_waitcnt vmcnt(4)
	v_mul_f32_e32 v21, v10, v8
	v_mul_f32_e32 v2, v9, v8
	s_waitcnt vmcnt(2)
	v_mul_f32_e32 v8, v1, v18
	s_delay_alu instid0(VALU_DEP_3)
	v_fmac_f32_e32 v21, v9, v7
	s_waitcnt vmcnt(0)
	v_dual_mul_f32 v9, v0, v18 :: v_dual_mul_f32 v18, v14, v12
	v_mul_f32_e32 v12, v13, v12
	v_fma_f32 v22, v10, v7, -v2
	v_fmac_f32_e32 v8, v0, v17
	s_delay_alu instid0(VALU_DEP_4)
	v_fma_f32 v9, v1, v17, -v9
	v_fmac_f32_e32 v18, v13, v11
	v_fma_f32 v19, v14, v11, -v12
	ds_store_b64 v255, v[21:22] offset:4032
	ds_store_b64 v255, v[8:9] offset:8232
	;; [unrolled: 1-line block ×3, first 2 shown]
.LBB0_3:
	s_or_b32 exec_lo, exec_lo, s12
	s_waitcnt lgkmcnt(0)
	s_waitcnt_vscnt null, 0x0
	s_barrier
	buffer_gl0_inv
	ds_load_2addr_b64 v[12:15], v255 offset1:63
	ds_load_2addr_b64 v[40:43], v6 offset0:13 offset1:76
	ds_load_2addr_b64 v[44:47], v5 offset0:26 offset1:89
	;; [unrolled: 1-line block ×11, first 2 shown]
                                        ; implicit-def: $vgpr84
                                        ; implicit-def: $vgpr48
                                        ; implicit-def: $vgpr50
	s_and_saveexec_b32 s2, vcc_lo
	s_cbranch_execz .LBB0_5
; %bb.4:
	ds_load_b64 v[84:85], v255 offset:4032
	ds_load_b64 v[50:51], v255 offset:8232
	ds_load_b64 v[48:49], v255 offset:12432
.LBB0_5:
	s_or_b32 exec_lo, exec_lo, s2
	s_load_b64 s[2:3], s[0:1], 0x8
	v_add_co_u32 v159, s0, v242, 63
	s_delay_alu instid0(VALU_DEP_1) | instskip(SKIP_1) | instid1(VALU_DEP_1)
	v_add_co_ci_u32_e64 v52, null, 0, 0, s0
	v_add_co_u32 v158, s0, 0x7e, v242
	v_add_co_ci_u32_e64 v52, null, 0, 0, s0
	v_add_co_u32 v156, s0, 0xfc, v242
	s_delay_alu instid0(VALU_DEP_1) | instskip(SKIP_1) | instid1(VALU_DEP_1)
	v_add_co_ci_u32_e64 v52, null, 0, 0, s0
	v_add_co_u32 v95, s0, 0x13b, v242
	v_add_co_ci_u32_e64 v52, null, 0, 0, s0
	;; [unrolled: 5-line block ×3, first 2 shown]
	s_waitcnt lgkmcnt(0)
	v_dual_add_f32 v52, v40, v44 :: v_dual_sub_f32 v55, v41, v45
	v_dual_add_f32 v53, v12, v40 :: v_dual_add_f32 v54, v41, v45
	v_add_f32_e32 v41, v13, v41
	s_delay_alu instid0(VALU_DEP_3) | instskip(SKIP_1) | instid1(VALU_DEP_4)
	v_fma_f32 v12, -0.5, v52, v12
	v_add_co_u32 v157, null, 0xbd, v242
	v_add_f32_e32 v52, v53, v44
	v_sub_f32_e32 v44, v40, v44
	s_delay_alu instid0(VALU_DEP_4) | instskip(SKIP_4) | instid1(VALU_DEP_4)
	v_dual_fmamk_f32 v40, v55, 0x3f5db3d7, v12 :: v_dual_add_f32 v53, v41, v45
	v_add_f32_e32 v45, v42, v46
	v_fma_f32 v13, -0.5, v54, v13
	v_fmac_f32_e32 v12, 0xbf5db3d7, v55
	v_dual_add_f32 v54, v14, v42 :: v_dual_add_f32 v55, v43, v47
	v_fma_f32 v14, -0.5, v45, v14
	v_sub_f32_e32 v45, v43, v47
	v_add_f32_e32 v43, v15, v43
	v_fmamk_f32 v41, v44, 0xbf5db3d7, v13
	v_dual_fmac_f32 v13, 0x3f5db3d7, v44 :: v_dual_add_f32 v44, v54, v46
	v_sub_f32_e32 v46, v42, v46
	v_dual_fmamk_f32 v42, v45, 0x3f5db3d7, v14 :: v_dual_fmac_f32 v15, -0.5, v55
	v_dual_fmac_f32 v14, 0xbf5db3d7, v45 :: v_dual_add_f32 v45, v43, v47
	v_add_f32_e32 v54, v8, v32
	v_add_f32_e32 v47, v32, v36
	s_delay_alu instid0(VALU_DEP_4) | instskip(SKIP_1) | instid1(VALU_DEP_4)
	v_fmamk_f32 v43, v46, 0xbf5db3d7, v15
	v_fmac_f32_e32 v15, 0x3f5db3d7, v46
	v_add_f32_e32 v46, v54, v36
	v_add_f32_e32 v54, v10, v34
	v_fma_f32 v8, -0.5, v47, v8
	v_sub_f32_e32 v47, v33, v37
	v_add_f32_e32 v55, v33, v37
	v_dual_add_f32 v33, v9, v33 :: v_dual_sub_f32 v36, v32, v36
	s_barrier
	s_delay_alu instid0(VALU_DEP_3)
	v_fmamk_f32 v32, v47, 0x3f5db3d7, v8
	v_fmac_f32_e32 v8, 0xbf5db3d7, v47
	v_fma_f32 v9, -0.5, v55, v9
	v_add_f32_e32 v47, v33, v37
	v_add_f32_e32 v37, v34, v38
	buffer_gl0_inv
	v_add_co_u32 v96, null, 0x1f8, v242
	v_fmamk_f32 v33, v36, 0xbf5db3d7, v9
	v_dual_fmac_f32 v9, 0x3f5db3d7, v36 :: v_dual_add_f32 v36, v54, v38
	v_dual_add_f32 v54, v4, v24 :: v_dual_add_f32 v55, v35, v39
	v_fma_f32 v10, -0.5, v37, v10
	v_sub_f32_e32 v37, v35, v39
	v_dual_add_f32 v35, v11, v35 :: v_dual_sub_f32 v38, v34, v38
	v_add_f32_e32 v56, v19, v23
	s_delay_alu instid0(VALU_DEP_3) | instskip(NEXT) | instid1(VALU_DEP_3)
	v_fmamk_f32 v34, v37, 0x3f5db3d7, v10
	v_dual_fmac_f32 v10, 0xbf5db3d7, v37 :: v_dual_add_f32 v37, v35, v39
	v_add_f32_e32 v39, v24, v28
	s_delay_alu instid0(VALU_DEP_1) | instskip(SKIP_4) | instid1(VALU_DEP_3)
	v_fma_f32 v4, -0.5, v39, v4
	v_sub_f32_e32 v39, v25, v29
	v_fmac_f32_e32 v11, -0.5, v55
	v_add_f32_e32 v55, v25, v29
	v_add_f32_e32 v25, v5, v25
	v_fmamk_f32 v35, v38, 0xbf5db3d7, v11
	v_dual_fmac_f32 v11, 0x3f5db3d7, v38 :: v_dual_add_f32 v38, v54, v28
	v_sub_f32_e32 v28, v24, v28
	v_fmamk_f32 v24, v39, 0x3f5db3d7, v4
	v_dual_fmac_f32 v4, 0xbf5db3d7, v39 :: v_dual_add_f32 v39, v25, v29
	v_add_f32_e32 v29, v26, v30
	v_fma_f32 v5, -0.5, v55, v5
	v_dual_add_f32 v54, v6, v26 :: v_dual_add_f32 v55, v27, v31
	s_delay_alu instid0(VALU_DEP_3)
	v_fma_f32 v6, -0.5, v29, v6
	v_sub_f32_e32 v29, v27, v31
	v_add_f32_e32 v27, v7, v27
	v_fmamk_f32 v25, v28, 0xbf5db3d7, v5
	v_dual_fmac_f32 v5, 0x3f5db3d7, v28 :: v_dual_add_f32 v28, v54, v30
	v_dual_fmac_f32 v7, -0.5, v55 :: v_dual_sub_f32 v30, v26, v30
	v_fmamk_f32 v26, v29, 0x3f5db3d7, v6
	v_dual_fmac_f32 v6, 0xbf5db3d7, v29 :: v_dual_add_f32 v29, v27, v31
	v_add_f32_e32 v31, v16, v20
	v_dual_add_f32 v54, v0, v16 :: v_dual_add_f32 v55, v17, v21
	s_delay_alu instid0(VALU_DEP_2) | instskip(SKIP_2) | instid1(VALU_DEP_4)
	v_fma_f32 v0, -0.5, v31, v0
	v_sub_f32_e32 v31, v17, v21
	v_add_f32_e32 v17, v1, v17
	v_fma_f32 v1, -0.5, v55, v1
	v_sub_f32_e32 v55, v19, v23
	v_fmamk_f32 v27, v30, 0xbf5db3d7, v7
	v_dual_fmac_f32 v7, 0x3f5db3d7, v30 :: v_dual_add_f32 v30, v54, v20
	v_add_f32_e32 v54, v18, v22
	v_sub_f32_e32 v20, v16, v20
	v_fmamk_f32 v16, v31, 0x3f5db3d7, v0
	v_dual_fmac_f32 v0, 0xbf5db3d7, v31 :: v_dual_add_f32 v31, v17, v21
	v_add_f32_e32 v21, v2, v18
	v_fma_f32 v2, -0.5, v54, v2
	v_add_f32_e32 v19, v3, v19
	v_dual_fmac_f32 v3, -0.5, v56 :: v_dual_sub_f32 v18, v18, v22
	v_fmamk_f32 v17, v20, 0xbf5db3d7, v1
	v_dual_fmac_f32 v1, 0x3f5db3d7, v20 :: v_dual_add_f32 v20, v21, v22
	v_fmamk_f32 v54, v55, 0x3f5db3d7, v2
	v_fmac_f32_e32 v2, 0xbf5db3d7, v55
	v_dual_add_f32 v22, v48, v50 :: v_dual_fmamk_f32 v55, v18, 0xbf5db3d7, v3
	v_dual_fmac_f32 v3, 0x3f5db3d7, v18 :: v_dual_add_f32 v18, v49, v51
	v_add_f32_e32 v21, v19, v23
	v_add_f32_e32 v19, v84, v50
	s_delay_alu instid0(VALU_DEP_4) | instskip(NEXT) | instid1(VALU_DEP_4)
	v_fmac_f32_e32 v84, -0.5, v22
	v_dual_add_f32 v22, v85, v51 :: v_dual_fmac_f32 v85, -0.5, v18
	v_mul_lo_u16 v18, v242, 3
	s_delay_alu instid0(VALU_DEP_4) | instskip(NEXT) | instid1(VALU_DEP_3)
	v_dual_add_f32 v86, v48, v19 :: v_dual_sub_f32 v19, v51, v49
	v_add_f32_e32 v87, v49, v22
	s_delay_alu instid0(VALU_DEP_3) | instskip(NEXT) | instid1(VALU_DEP_3)
	v_dual_sub_f32 v23, v50, v48 :: v_dual_and_b32 v18, 0xffff, v18
	v_fmamk_f32 v88, v19, 0x3f5db3d7, v84
	v_fmac_f32_e32 v84, 0xbf5db3d7, v19
	v_mul_u32_u24_e32 v19, 3, v159
	s_delay_alu instid0(VALU_DEP_4)
	v_lshlrev_b32_e32 v22, 3, v18
	v_mul_u32_u24_e32 v18, 3, v158
	v_fmamk_f32 v89, v23, 0xbf5db3d7, v85
	v_fmac_f32_e32 v85, 0x3f5db3d7, v23
	v_lshlrev_b32_e32 v19, 3, v19
	ds_store_2addr_b64 v22, v[52:53], v[40:41] offset1:1
	ds_store_b64 v22, v[12:13] offset:16
	v_mul_u32_u24_e32 v12, 3, v157
	v_lshlrev_b32_e32 v18, 3, v18
	v_mul_u32_u24_e32 v13, 3, v156
	ds_store_2addr_b64 v19, v[44:45], v[42:43] offset1:1
	ds_store_b64 v19, v[14:15] offset:16
	v_lshlrev_b32_e32 v14, 3, v12
	ds_store_2addr_b64 v18, v[46:47], v[32:33] offset1:1
	ds_store_b64 v18, v[8:9] offset:16
	v_lshlrev_b32_e32 v12, 3, v13
	v_mul_u32_u24_e32 v8, 3, v95
	ds_store_2addr_b64 v14, v[36:37], v[34:35] offset1:1
	ds_store_b64 v14, v[10:11] offset:16
	v_mul_u32_u24_e32 v9, 3, v94
	v_mul_u32_u24_e32 v10, 3, v93
	v_lshlrev_b32_e32 v11, 3, v8
	ds_store_2addr_b64 v12, v[38:39], v[24:25] offset1:1
	ds_store_b64 v12, v[4:5] offset:16
	v_lshlrev_b32_e32 v8, 3, v9
	v_lshlrev_b32_e32 v4, 3, v10
	v_mul_u32_u24_e32 v5, 3, v96
	s_clause 0x6
	scratch_store_b32 off, v12, off offset:192
	scratch_store_b32 off, v22, off offset:224
	;; [unrolled: 1-line block ×7, first 2 shown]
	ds_store_2addr_b64 v11, v[28:29], v[26:27] offset1:1
	ds_store_b64 v11, v[6:7] offset:16
	scratch_store_b32 off, v5, off offset:260 ; 4-byte Folded Spill
	ds_store_2addr_b64 v8, v[30:31], v[16:17] offset1:1
	ds_store_b64 v8, v[0:1] offset:16
	ds_store_2addr_b64 v4, v[20:21], v[54:55] offset1:1
	scratch_store_b32 off, v4, off offset:196 ; 4-byte Folded Spill
	ds_store_b64 v4, v[2:3] offset:16
	s_and_saveexec_b32 s0, vcc_lo
	s_cbranch_execz .LBB0_7
; %bb.6:
	v_mul_u32_u24_e32 v0, 3, v96
	s_delay_alu instid0(VALU_DEP_1)
	v_lshlrev_b32_e32 v0, 3, v0
	ds_store_2addr_b64 v0, v[86:87], v[88:89] offset1:1
	ds_store_b64 v0, v[84:85] offset:16
.LBB0_7:
	s_or_b32 exec_lo, exec_lo, s0
	v_add_nc_u32_e32 v8, 0x1000, v255
	v_add_nc_u32_e32 v9, 0x2000, v255
	s_waitcnt lgkmcnt(0)
	s_waitcnt_vscnt null, 0x0
	s_barrier
	buffer_gl0_inv
	ds_load_2addr_b64 v[0:3], v255 offset1:63
	ds_load_2addr_b64 v[76:79], v8 offset0:13 offset1:76
	ds_load_2addr_b64 v[72:75], v9 offset0:26 offset1:89
	ds_load_2addr_b64 v[4:7], v255 offset0:126 offset1:189
	ds_load_2addr_b64 v[68:71], v8 offset0:139 offset1:202
	v_add_nc_u32_e32 v8, 0x400, v255
	v_add_nc_u32_e32 v12, 0x1800, v255
	;; [unrolled: 1-line block ×4, first 2 shown]
	ds_load_2addr_b64 v[80:83], v9 offset0:152 offset1:215
	ds_load_2addr_b64 v[36:39], v8 offset0:124 offset1:187
	;; [unrolled: 1-line block ×7, first 2 shown]
	s_and_saveexec_b32 s0, vcc_lo
	s_cbranch_execz .LBB0_9
; %bb.8:
	ds_load_b64 v[86:87], v255 offset:4032
	ds_load_b64 v[88:89], v255 offset:8232
	;; [unrolled: 1-line block ×3, first 2 shown]
.LBB0_9:
	s_or_b32 exec_lo, exec_lo, s0
	v_and_b32_e32 v92, 0xff, v242
	v_and_b32_e32 v90, 0xff, v159
	;; [unrolled: 1-line block ×3, first 2 shown]
	s_delay_alu instid0(VALU_DEP_3) | instskip(NEXT) | instid1(VALU_DEP_3)
	v_mul_lo_u16 v12, 0xab, v92
	v_mul_lo_u16 v15, 0xab, v90
	s_delay_alu instid0(VALU_DEP_3) | instskip(NEXT) | instid1(VALU_DEP_3)
	v_mul_lo_u16 v17, 0xab, v161
	v_lshrrev_b16 v97, 9, v12
	s_delay_alu instid0(VALU_DEP_3) | instskip(NEXT) | instid1(VALU_DEP_3)
	v_lshrrev_b16 v98, 9, v15
	v_lshrrev_b16 v99, 9, v17
	s_delay_alu instid0(VALU_DEP_3) | instskip(NEXT) | instid1(VALU_DEP_3)
	v_mul_lo_u16 v15, v97, 3
	v_mul_lo_u16 v17, v98, 3
	v_and_b32_e32 v98, 0xffff, v98
	s_delay_alu instid0(VALU_DEP_3) | instskip(NEXT) | instid1(VALU_DEP_3)
	v_sub_nc_u16 v15, v242, v15
	v_sub_nc_u16 v17, v159, v17
	s_delay_alu instid0(VALU_DEP_3) | instskip(NEXT) | instid1(VALU_DEP_3)
	v_mul_u32_u24_e32 v98, 9, v98
	v_and_b32_e32 v101, 0xff, v15
	s_delay_alu instid0(VALU_DEP_3) | instskip(NEXT) | instid1(VALU_DEP_2)
	v_and_b32_e32 v102, 0xff, v17
	v_lshlrev_b32_e32 v17, 4, v101
	s_delay_alu instid0(VALU_DEP_2) | instskip(SKIP_2) | instid1(VALU_DEP_1)
	v_add_lshl_u32 v129, v98, v102, 3
	global_load_b128 v[48:51], v17, s[2:3]
	v_and_b32_e32 v160, 0xff, v157
	v_mul_lo_u16 v18, 0xab, v160
	s_delay_alu instid0(VALU_DEP_1) | instskip(SKIP_1) | instid1(VALU_DEP_2)
	v_lshrrev_b16 v100, 9, v18
	v_mul_lo_u16 v18, v99, 3
	v_mul_lo_u16 v15, v100, 3
	s_delay_alu instid0(VALU_DEP_2) | instskip(SKIP_1) | instid1(VALU_DEP_3)
	v_sub_nc_u16 v18, v158, v18
	v_and_b32_e32 v100, 0xffff, v100
	v_sub_nc_u16 v15, v157, v15
	s_delay_alu instid0(VALU_DEP_3) | instskip(SKIP_1) | instid1(VALU_DEP_4)
	v_and_b32_e32 v103, 0xff, v18
	v_lshlrev_b32_e32 v18, 4, v102
	v_mul_u32_u24_e32 v100, 9, v100
	s_delay_alu instid0(VALU_DEP_4)
	v_and_b32_e32 v105, 0xff, v15
	global_load_b128 v[44:47], v18, s[2:3]
	v_lshlrev_b32_e32 v15, 4, v103
	v_and_b32_e32 v91, 0xffff, v156
	v_lshlrev_b32_e32 v17, 4, v105
	v_and_b32_e32 v13, 0xffff, v95
	v_and_b32_e32 v14, 0xffff, v94
	global_load_b128 v[40:43], v15, s[2:3]
	v_mul_u32_u24_e32 v19, 0xaaab, v91
	global_load_b128 v[28:31], v17, s[2:3]
	v_and_b32_e32 v99, 0xffff, v99
	v_lshrrev_b32_e32 v104, 17, v19
	s_delay_alu instid0(VALU_DEP_2) | instskip(NEXT) | instid1(VALU_DEP_1)
	v_mul_u32_u24_e32 v99, 9, v99
	v_add_lshl_u32 v128, v99, v103, 3
	s_waitcnt vmcnt(2) lgkmcnt(10)
	v_mul_f32_e32 v98, v78, v45
	v_mul_u32_u24_e32 v13, 0xaaab, v13
	s_waitcnt lgkmcnt(9)
	v_mul_f32_e32 v99, v75, v47
	v_mul_u32_u24_e32 v14, 0xaaab, v14
	v_fmac_f32_e32 v98, v79, v44
	v_lshrrev_b32_e32 v106, 17, v13
	v_mul_lo_u16 v13, v104, 3
	s_delay_alu instid0(VALU_DEP_4) | instskip(NEXT) | instid1(VALU_DEP_3)
	v_lshrrev_b32_e32 v107, 17, v14
	v_mul_lo_u16 v14, v106, 3
	s_delay_alu instid0(VALU_DEP_3) | instskip(NEXT) | instid1(VALU_DEP_2)
	v_sub_nc_u16 v108, v156, v13
	v_sub_nc_u16 v95, v95, v14
	s_delay_alu instid0(VALU_DEP_2) | instskip(SKIP_3) | instid1(VALU_DEP_3)
	v_lshlrev_b16 v14, 1, v108
	v_mad_u16 v104, v104, 9, v108
	s_waitcnt vmcnt(0) lgkmcnt(6)
	v_mul_f32_e32 v108, v82, v31
	v_and_b32_e32 v14, 0xffff, v14
	s_delay_alu instid0(VALU_DEP_2) | instskip(NEXT) | instid1(VALU_DEP_2)
	v_fmac_f32_e32 v108, v83, v30
	v_lshlrev_b32_e32 v14, 3, v14
	global_load_b128 v[32:35], v14, s[2:3]
	v_dual_mul_f32 v103, v81, v43 :: v_dual_and_b32 v12, 0xffff, v93
	v_mul_f32_e32 v102, v68, v41
	v_and_b32_e32 v97, 0xffff, v97
	v_and_b32_e32 v16, 0xffff, v96
	s_delay_alu instid0(VALU_DEP_4) | instskip(NEXT) | instid1(VALU_DEP_4)
	v_mul_u32_u24_e32 v12, 0xaaab, v12
	v_fmac_f32_e32 v102, v69, v40
	s_delay_alu instid0(VALU_DEP_4) | instskip(NEXT) | instid1(VALU_DEP_3)
	v_mul_u32_u24_e32 v97, 9, v97
	v_lshrrev_b32_e32 v109, 17, v12
	v_mul_lo_u16 v12, v107, 3
	s_delay_alu instid0(VALU_DEP_3) | instskip(SKIP_2) | instid1(VALU_DEP_4)
	v_add_lshl_u32 v130, v97, v101, 3
	v_mul_f32_e32 v101, v69, v41
	v_mul_u32_u24_e32 v13, 0xaaab, v16
	v_sub_nc_u16 v94, v94, v12
	v_lshlrev_b16 v12, 1, v95
	v_mad_u16 v95, v106, 9, v95
	v_mul_f32_e32 v106, v70, v29
	v_lshrrev_b32_e32 v110, 17, v13
	v_mul_lo_u16 v13, v109, 3
	v_and_b32_e32 v12, 0xffff, v12
	v_add_lshl_u32 v123, v100, v105, 3
	v_mul_f32_e32 v100, v74, v47
	v_mul_lo_u16 v15, v110, 3
	v_sub_nc_u16 v93, v93, v13
	v_lshlrev_b16 v13, 1, v94
	v_lshlrev_b32_e32 v12, 3, v12
	v_fmac_f32_e32 v100, v75, v46
	v_sub_nc_u16 v96, v96, v15
	v_lshlrev_b16 v15, 1, v93
	v_and_b32_e32 v13, 0xffff, v13
	global_load_b128 v[24:27], v12, s[2:3]
	v_fma_f32 v74, v74, v46, -v99
	v_lshlrev_b16 v14, 1, v96
	v_and_b32_e32 v15, 0xffff, v15
	v_lshlrev_b32_e32 v13, 3, v13
	v_mad_u16 v94, v107, 9, v94
	v_mad_u16 v93, v109, 9, v93
	;; [unrolled: 1-line block ×3, first 2 shown]
	v_dual_fmac_f32 v106, v71, v28 :: v_dual_and_b32 v95, 0xffff, v95
	global_load_b128 v[20:23], v13, s[2:3]
	v_and_b32_e32 v12, 0xffff, v14
	v_lshlrev_b32_e32 v14, 3, v15
	v_and_b32_e32 v93, 0xffff, v93
	v_mul_f32_e32 v105, v71, v29
	s_delay_alu instid0(VALU_DEP_4) | instskip(SKIP_1) | instid1(VALU_DEP_4)
	v_dual_mul_f32 v107, v83, v31 :: v_dual_lshlrev_b32 v12, 3, v12
	v_lshlrev_b32_e32 v121, 3, v95
	v_lshlrev_b32_e32 v119, 3, v93
	v_mul_f32_e32 v93, v77, v49
	v_mul_f32_e32 v95, v73, v51
	;; [unrolled: 1-line block ×3, first 2 shown]
	v_fma_f32 v70, v70, v28, -v105
	v_fma_f32 v71, v82, v30, -v107
	;; [unrolled: 1-line block ×3, first 2 shown]
	s_waitcnt vmcnt(2) lgkmcnt(4)
	v_mul_f32_e32 v79, v64, v33
	s_waitcnt vmcnt(1)
	s_delay_alu instid0(VALU_DEP_1) | instskip(SKIP_1) | instid1(VALU_DEP_1)
	v_dual_fmac_f32 v79, v65, v32 :: v_dual_mul_f32 v82, v67, v25
	v_mul_f32_e32 v83, v66, v25
	v_fmac_f32_e32 v83, v67, v24
	s_waitcnt vmcnt(0) lgkmcnt(1)
	v_mul_f32_e32 v99, v52, v21
	s_clause 0x1
	global_load_b128 v[16:19], v14, s[2:3]
	global_load_b128 v[12:15], v12, s[2:3]
	scratch_store_b32 off, v96, off offset:168 ; 4-byte Folded Spill
	v_and_b32_e32 v96, 0xffff, v104
	v_and_b32_e32 v94, 0xffff, v94
	v_mul_f32_e32 v104, v80, v43
	s_waitcnt lgkmcnt(0)
	v_mul_f32_e32 v101, v57, v23
	s_waitcnt vmcnt(0)
	s_waitcnt_vscnt null, 0x0
	s_barrier
	buffer_gl0_inv
	v_dual_fmac_f32 v104, v81, v42 :: v_dual_mul_f32 v81, v60, v35
	scratch_store_b32 off, v130, off offset:232 ; 4-byte Folded Spill
	v_fmac_f32_e32 v81, v61, v34
	v_dual_mul_f32 v107, v54, v17 :: v_dual_lshlrev_b32 v120, 3, v94
	v_mul_f32_e32 v111, v89, v13
	v_mul_f32_e32 v94, v76, v49
	v_dual_mul_f32 v105, v55, v17 :: v_dual_lshlrev_b32 v122, 3, v96
	v_mul_f32_e32 v109, v59, v19
	v_mul_f32_e32 v96, v72, v51
	v_fma_f32 v76, v76, v48, -v93
	v_fmac_f32_e32 v94, v77, v48
	v_fma_f32 v72, v72, v50, -v95
	v_fma_f32 v77, v80, v42, -v103
	v_fmac_f32_e32 v96, v73, v50
	v_fma_f32 v73, v78, v44, -v97
	v_mul_f32_e32 v78, v65, v33
	v_mul_f32_e32 v80, v61, v35
	;; [unrolled: 1-line block ×3, first 2 shown]
	v_dual_mul_f32 v97, v53, v21 :: v_dual_mul_f32 v110, v58, v19
	v_dual_mul_f32 v69, v88, v13 :: v_dual_mul_f32 v112, v85, v15
	v_mul_f32_e32 v95, v62, v27
	v_mul_f32_e32 v103, v56, v23
	;; [unrolled: 1-line block ×3, first 2 shown]
	v_fma_f32 v64, v64, v32, -v78
	v_fma_f32 v78, v60, v34, -v80
	;; [unrolled: 1-line block ×6, first 2 shown]
	v_dual_fmac_f32 v107, v55, v16 :: v_dual_fmac_f32 v68, v85, v14
	v_fma_f32 v93, v58, v18, -v109
	v_dual_fmac_f32 v69, v89, v12 :: v_dual_add_f32 v58, v2, v73
	v_fma_f32 v52, v84, v14, -v112
	v_dual_add_f32 v55, v76, v72 :: v_dual_add_f32 v56, v1, v94
	v_dual_add_f32 v61, v98, v100 :: v_dual_add_f32 v84, v4, v75
	v_fmac_f32_e32 v95, v63, v26
	v_dual_fmac_f32 v99, v53, v20 :: v_dual_fmac_f32 v110, v59, v18
	v_dual_fmac_f32 v103, v57, v22 :: v_dual_sub_f32 v66, v94, v96
	v_fma_f32 v63, v54, v16, -v105
	v_fma_f32 v53, v88, v12, -v111
	v_add_f32_e32 v54, v0, v76
	v_dual_add_f32 v57, v94, v96 :: v_dual_add_f32 v60, v3, v98
	v_sub_f32_e32 v67, v76, v72
	v_dual_add_f32 v59, v73, v74 :: v_dual_sub_f32 v76, v98, v100
	v_dual_sub_f32 v73, v73, v74 :: v_dual_sub_f32 v88, v102, v104
	v_dual_add_f32 v85, v75, v77 :: v_dual_add_f32 v94, v102, v104
	v_add_f32_e32 v89, v5, v102
	v_add_f32_e32 v97, v6, v70
	;; [unrolled: 1-line block ×3, first 2 shown]
	v_dual_sub_f32 v101, v106, v108 :: v_dual_add_f32 v102, v7, v106
	v_fma_f32 v0, -0.5, v55, v0
	v_dual_add_f32 v55, v56, v96 :: v_dual_add_f32 v56, v58, v74
	v_dual_add_f32 v58, v84, v77 :: v_dual_add_f32 v105, v106, v108
	v_dual_sub_f32 v75, v75, v77 :: v_dual_add_f32 v54, v54, v72
	v_sub_f32_e32 v106, v70, v71
	v_fma_f32 v1, -0.5, v57, v1
	v_fma_f32 v2, -0.5, v59, v2
	v_dual_add_f32 v57, v60, v100 :: v_dual_sub_f32 v84, v79, v81
	v_dual_fmac_f32 v3, -0.5, v61 :: v_dual_add_f32 v72, v36, v64
	v_fma_f32 v4, -0.5, v85, v4
	v_dual_add_f32 v59, v89, v104 :: v_dual_add_f32 v74, v64, v78
	v_fma_f32 v5, -0.5, v94, v5
	v_add_f32_e32 v60, v97, v71
	v_fma_f32 v6, -0.5, v98, v6
	v_dual_add_f32 v61, v102, v108 :: v_dual_sub_f32 v96, v83, v95
	v_dual_fmac_f32 v7, -0.5, v105 :: v_dual_add_f32 v94, v65, v80
	v_dual_add_f32 v77, v37, v79 :: v_dual_add_f32 v100, v8, v62
	v_dual_add_f32 v79, v79, v81 :: v_dual_sub_f32 v98, v65, v80
	v_dual_sub_f32 v85, v64, v78 :: v_dual_sub_f32 v104, v99, v103
	v_dual_add_f32 v89, v38, v65 :: v_dual_sub_f32 v112, v107, v110
	v_dual_add_f32 v97, v39, v83 :: v_dual_add_f32 v102, v62, v82
	v_dual_add_f32 v83, v83, v95 :: v_dual_sub_f32 v108, v62, v82
	v_dual_add_f32 v105, v9, v99 :: v_dual_sub_f32 v114, v63, v93
	;; [unrolled: 1-line block ×3, first 2 shown]
	v_dual_add_f32 v111, v63, v93 :: v_dual_fmamk_f32 v62, v66, 0x3f5db3d7, v0
	v_dual_add_f32 v113, v11, v107 :: v_dual_fmac_f32 v0, 0xbf5db3d7, v66
	v_dual_add_f32 v107, v107, v110 :: v_dual_fmamk_f32 v64, v76, 0x3f5db3d7, v2
	v_dual_add_f32 v115, v53, v52 :: v_dual_fmamk_f32 v66, v88, 0x3f5db3d7, v4
	v_add_f32_e32 v117, v69, v68
	v_dual_add_f32 v109, v10, v63 :: v_dual_sub_f32 v118, v53, v52
	v_dual_fmamk_f32 v63, v67, 0xbf5db3d7, v1 :: v_dual_fmac_f32 v2, 0xbf5db3d7, v76
	v_dual_fmac_f32 v1, 0x3f5db3d7, v67 :: v_dual_fmamk_f32 v70, v101, 0x3f5db3d7, v6
	v_fmac_f32_e32 v6, 0xbf5db3d7, v101
	v_fma_f32 v36, -0.5, v74, v36
	v_fma_f32 v37, -0.5, v79, v37
	v_fma_f32 v38, -0.5, v94, v38
	v_fmac_f32_e32 v39, -0.5, v83
	v_fma_f32 v8, -0.5, v102, v8
	v_fma_f32 v9, -0.5, v99, v9
	;; [unrolled: 1-line block ×3, first 2 shown]
	v_fmac_f32_e32 v11, -0.5, v107
	v_fma_f32 v126, -0.5, v115, v86
	v_fma_f32 v127, -0.5, v117, v87
	v_dual_fmamk_f32 v65, v73, 0xbf5db3d7, v3 :: v_dual_fmac_f32 v4, 0xbf5db3d7, v88
	v_dual_fmac_f32 v3, 0x3f5db3d7, v73 :: v_dual_add_f32 v72, v72, v78
	v_dual_fmamk_f32 v67, v75, 0xbf5db3d7, v5 :: v_dual_add_f32 v74, v89, v80
	v_dual_fmac_f32 v5, 0x3f5db3d7, v75 :: v_dual_add_f32 v76, v100, v82
	v_dual_fmamk_f32 v71, v106, 0xbf5db3d7, v7 :: v_dual_add_f32 v78, v109, v93
	v_dual_fmac_f32 v7, 0x3f5db3d7, v106 :: v_dual_fmamk_f32 v80, v84, 0x3f5db3d7, v36
	v_dual_add_f32 v73, v77, v81 :: v_dual_fmac_f32 v36, 0xbf5db3d7, v84
	v_dual_add_f32 v75, v97, v95 :: v_dual_fmamk_f32 v82, v96, 0x3f5db3d7, v38
	v_dual_add_f32 v77, v105, v103 :: v_dual_fmamk_f32 v84, v104, 0x3f5db3d7, v8
	v_dual_add_f32 v79, v113, v110 :: v_dual_fmac_f32 v8, 0xbf5db3d7, v104
	v_fmamk_f32 v81, v85, 0xbf5db3d7, v37
	v_dual_fmac_f32 v37, 0x3f5db3d7, v85 :: v_dual_fmamk_f32 v124, v116, 0x3f5db3d7, v126
	v_dual_fmac_f32 v38, 0xbf5db3d7, v96 :: v_dual_fmamk_f32 v83, v98, 0xbf5db3d7, v39
	v_fmac_f32_e32 v126, 0xbf5db3d7, v116
	v_fmac_f32_e32 v39, 0x3f5db3d7, v98
	v_fmamk_f32 v85, v108, 0xbf5db3d7, v9
	v_dual_fmac_f32 v9, 0x3f5db3d7, v108 :: v_dual_fmamk_f32 v88, v112, 0x3f5db3d7, v10
	v_dual_fmac_f32 v10, 0xbf5db3d7, v112 :: v_dual_fmamk_f32 v89, v114, 0xbf5db3d7, v11
	v_fmac_f32_e32 v11, 0x3f5db3d7, v114
	v_fmamk_f32 v125, v118, 0xbf5db3d7, v127
	v_fmac_f32_e32 v127, 0x3f5db3d7, v118
	ds_store_2addr_b64 v130, v[54:55], v[62:63] offset1:3
	ds_store_b64 v130, v[0:1] offset:48
	ds_store_2addr_b64 v129, v[56:57], v[64:65] offset1:3
	scratch_store_b32 off, v129, off offset:228 ; 4-byte Folded Spill
	ds_store_b64 v129, v[2:3] offset:48
	ds_store_2addr_b64 v128, v[58:59], v[66:67] offset1:3
	scratch_store_b32 off, v128, off offset:208 ; 4-byte Folded Spill
	ds_store_b64 v128, v[4:5] offset:48
	ds_store_2addr_b64 v123, v[60:61], v[70:71] offset1:3
	scratch_store_b32 off, v123, off offset:188 ; 4-byte Folded Spill
	ds_store_b64 v123, v[6:7] offset:48
	ds_store_2addr_b64 v122, v[72:73], v[80:81] offset1:3
	scratch_store_b32 off, v122, off offset:184 ; 4-byte Folded Spill
	ds_store_b64 v122, v[36:37] offset:48
	ds_store_2addr_b64 v121, v[74:75], v[82:83] offset1:3
	scratch_store_b32 off, v121, off offset:180 ; 4-byte Folded Spill
	ds_store_b64 v121, v[38:39] offset:48
	ds_store_2addr_b64 v120, v[76:77], v[84:85] offset1:3
	scratch_store_b32 off, v120, off offset:176 ; 4-byte Folded Spill
	ds_store_b64 v120, v[8:9] offset:48
	ds_store_2addr_b64 v119, v[78:79], v[88:89] offset1:3
	scratch_store_b32 off, v119, off offset:172 ; 4-byte Folded Spill
	ds_store_b64 v119, v[10:11] offset:48
	s_and_saveexec_b32 s0, vcc_lo
	s_cbranch_execz .LBB0_11
; %bb.10:
	scratch_load_b32 v1, off, off offset:168 ; 4-byte Folded Reload
	v_add_f32_e32 v0, v87, v69
	v_add_f32_e32 v2, v86, v53
	s_waitcnt vmcnt(0)
	v_and_b32_e32 v3, 0xffff, v1
	s_delay_alu instid0(VALU_DEP_3) | instskip(NEXT) | instid1(VALU_DEP_3)
	v_add_f32_e32 v1, v0, v68
	v_add_f32_e32 v0, v2, v52
	s_delay_alu instid0(VALU_DEP_3)
	v_lshlrev_b32_e32 v2, 3, v3
	ds_store_2addr_b64 v2, v[0:1], v[124:125] offset1:3
	ds_store_b64 v2, v[126:127] offset:48
.LBB0_11:
	s_or_b32 exec_lo, exec_lo, s0
	v_mul_lo_u16 v0, v92, 57
	v_mul_lo_u16 v1, v90, 57
	s_waitcnt lgkmcnt(0)
	s_waitcnt_vscnt null, 0x0
	s_barrier
	buffer_gl0_inv
	v_lshrrev_b16 v62, 9, v0
	v_lshrrev_b16 v57, 9, v1
	v_mul_lo_u16 v74, v161, 57
	v_mul_u32_u24_e32 v73, 0xe38f, v91
	v_add_nc_u32_e32 v163, 0x2800, v255
	v_mul_lo_u16 v0, v62, 9
	v_mul_lo_u16 v1, v57, 9
	s_delay_alu instid0(VALU_DEP_4) | instskip(NEXT) | instid1(VALU_DEP_3)
	v_lshrrev_b32_e32 v145, 19, v73
	v_sub_nc_u16 v0, v242, v0
	s_delay_alu instid0(VALU_DEP_3) | instskip(NEXT) | instid1(VALU_DEP_3)
	v_sub_nc_u16 v1, v159, v1
	v_mul_lo_u16 v75, v145, 9
	s_delay_alu instid0(VALU_DEP_3) | instskip(NEXT) | instid1(VALU_DEP_3)
	v_and_b32_e32 v63, 0xff, v0
	v_and_b32_e32 v58, 0xff, v1
	s_delay_alu instid0(VALU_DEP_3) | instskip(NEXT) | instid1(VALU_DEP_3)
	v_sub_nc_u16 v146, v156, v75
	v_lshlrev_b32_e32 v8, 5, v63
	s_delay_alu instid0(VALU_DEP_3)
	v_lshlrev_b32_e32 v36, 5, v58
	s_clause 0x3
	global_load_b128 v[0:3], v8, s[2:3] offset:48
	global_load_b128 v[4:7], v36, s[2:3] offset:48
	;; [unrolled: 1-line block ×4, first 2 shown]
	v_add_nc_u32_e32 v56, 0x1000, v255
	v_add_nc_u32_e32 v52, 0x2400, v255
	;; [unrolled: 1-line block ×3, first 2 shown]
	ds_load_2addr_b64 v[68:71], v56 offset0:118 offset1:181
	ds_load_2addr_b64 v[52:55], v52 offset0:108 offset1:171
	ds_load_b64 v[134:135], v255 offset:12096
	s_waitcnt vmcnt(3) lgkmcnt(2)
	v_mul_f32_e32 v60, v69, v3
	v_mul_f32_e32 v64, v68, v3
	s_waitcnt vmcnt(2)
	v_mul_f32_e32 v61, v71, v7
	v_mul_f32_e32 v59, v70, v7
	s_waitcnt vmcnt(1) lgkmcnt(1)
	v_mul_f32_e32 v65, v52, v11
	v_fma_f32 v66, v68, v2, -v60
	s_waitcnt vmcnt(0)
	v_mul_f32_e32 v60, v54, v39
	v_mul_f32_e32 v67, v53, v11
	v_fmac_f32_e32 v64, v69, v2
	v_mul_f32_e32 v68, v55, v39
	v_fma_f32 v61, v70, v6, -v61
	v_fmac_f32_e32 v60, v55, v38
	v_fma_f32 v89, v52, v10, -v67
	v_add_nc_u32_e32 v69, 0x400, v255
	v_and_b32_e32 v52, 0xffff, v62
	v_fma_f32 v99, v54, v38, -v68
	v_fmac_f32_e32 v65, v53, v10
	v_fmac_f32_e32 v59, v71, v6
	ds_load_2addr_b64 v[140:143], v69 offset0:124 offset1:187
	v_mul_u32_u24_e32 v52, 45, v52
	v_add_nc_u32_e32 v75, 0x1c00, v255
	s_delay_alu instid0(VALU_DEP_2)
	v_add_lshl_u32 v153, v52, v63, 3
	s_waitcnt lgkmcnt(0)
	v_dual_mul_f32 v139, v142, v1 :: v_dual_add_nc_u32 v52, 0x1800, v255
	ds_load_2addr_b64 v[67:70], v52 offset0:114 offset1:177
	v_mul_f32_e32 v53, v143, v1
	v_fmac_f32_e32 v139, v143, v0
	v_lshrrev_b16 v143, 9, v74
	s_delay_alu instid0(VALU_DEP_3)
	v_fma_f32 v55, v142, v0, -v53
	v_mul_lo_u16 v74, v160, 57
	v_add_nc_u32_e32 v155, 0x800, v255
	v_add_nc_u32_e32 v162, 0x1400, v255
	v_mul_lo_u16 v73, v143, 9
	v_sub_f32_e32 v149, v139, v65
	v_lshrrev_b16 v144, 9, v74
	s_delay_alu instid0(VALU_DEP_3) | instskip(NEXT) | instid1(VALU_DEP_2)
	v_sub_nc_u16 v73, v158, v73
	v_mul_lo_u16 v74, v144, 9
	s_waitcnt lgkmcnt(0)
	v_mul_f32_e32 v53, v70, v9
	v_mul_f32_e32 v138, v69, v9
	s_delay_alu instid0(VALU_DEP_3)
	v_sub_nc_u16 v74, v157, v74
	v_and_b32_e32 v147, 0xff, v73
	v_lshlrev_b16 v73, 5, v146
	v_fma_f32 v136, v69, v8, -v53
	v_fmac_f32_e32 v138, v70, v8
	ds_load_2addr_b64 v[69:72], v255 offset1:63
	v_sub_f32_e32 v62, v139, v64
	v_and_b32_e32 v148, 0xff, v74
	v_sub_f32_e32 v53, v55, v66
	v_sub_f32_e32 v63, v65, v138
	v_dual_sub_f32 v54, v89, v136 :: v_dual_and_b32 v73, 0xffff, v73
	v_add_nc_u32_e32 v164, 0xc00, v255
	v_lshlrev_b32_e32 v76, 5, v147
	s_delay_alu instid0(VALU_DEP_3)
	v_dual_add_f32 v142, v62, v63 :: v_dual_add_f32 v137, v53, v54
	v_add_f32_e32 v53, v66, v136
	v_add_co_u32 v73, s0, s2, v73
	v_lshlrev_b32_e32 v77, 5, v148
	v_add_co_ci_u32_e64 v74, null, s3, 0, s0
	v_cmp_gt_u16_e64 s0, 36, v242
	s_clause 0x5
	global_load_b128 v[108:111], v[73:74], off offset:48
	global_load_b128 v[120:123], v[73:74], off offset:64
	global_load_b128 v[100:103], v76, s[2:3] offset:48
	global_load_b128 v[112:115], v76, s[2:3] offset:64
	;; [unrolled: 1-line block ×4, first 2 shown]
	s_waitcnt lgkmcnt(0)
	v_add_f32_e32 v63, v70, v139
	v_fma_f32 v53, -0.5, v53, v69
	ds_load_2addr_b64 v[73:76], v75 offset0:112 offset1:175
	ds_load_2addr_b64 v[77:80], v255 offset0:126 offset1:189
	;; [unrolled: 1-line block ×7, first 2 shown]
	s_waitcnt vmcnt(0) lgkmcnt(0)
	s_barrier
	v_dual_add_f32 v63, v63, v64 :: v_dual_add_f32 v62, v69, v55
	v_sub_f32_e32 v152, v66, v136
	v_sub_f32_e32 v150, v55, v89
	s_delay_alu instid0(VALU_DEP_3) | instskip(NEXT) | instid1(VALU_DEP_4)
	v_dual_fmamk_f32 v132, v149, 0x3f737871, v53 :: v_dual_add_f32 v63, v63, v138
	v_add_f32_e32 v62, v62, v66
	buffer_gl0_inv
	v_fmac_f32_e32 v53, 0xbf737871, v149
	v_dual_add_f32 v63, v63, v65 :: v_dual_add_f32 v54, v64, v138
	v_dual_add_f32 v62, v62, v136 :: v_dual_sub_f32 v151, v64, v138
	s_delay_alu instid0(VALU_DEP_2) | instskip(NEXT) | instid1(VALU_DEP_2)
	v_fma_f32 v54, -0.5, v54, v70
	v_add_f32_e32 v62, v62, v89
	s_delay_alu instid0(VALU_DEP_3) | instskip(NEXT) | instid1(VALU_DEP_3)
	v_fmac_f32_e32 v132, 0x3f167918, v151
	v_fmamk_f32 v133, v150, 0xbf737871, v54
	s_delay_alu instid0(VALU_DEP_2) | instskip(NEXT) | instid1(VALU_DEP_2)
	v_fmac_f32_e32 v132, 0x3e9e377a, v137
	v_fmac_f32_e32 v133, 0xbf167918, v152
	;; [unrolled: 1-line block ×3, first 2 shown]
	s_delay_alu instid0(VALU_DEP_2) | instskip(NEXT) | instid1(VALU_DEP_2)
	v_dual_fmac_f32 v133, 0x3e9e377a, v142 :: v_dual_sub_f32 v64, v64, v139
	v_fmac_f32_e32 v54, 0x3f167918, v152
	ds_store_2addr_b64 v153, v[62:63], v[132:133] offset1:9
	v_dual_sub_f32 v62, v66, v55 :: v_dual_sub_f32 v63, v136, v89
	v_add_f32_e32 v55, v55, v89
	v_add_f32_e32 v66, v139, v65
	v_dual_sub_f32 v65, v138, v65 :: v_dual_fmac_f32 v54, 0x3e9e377a, v142
	s_delay_alu instid0(VALU_DEP_4) | instskip(NEXT) | instid1(VALU_DEP_4)
	v_add_f32_e32 v89, v62, v63
	v_fma_f32 v62, -0.5, v55, v69
	s_delay_alu instid0(VALU_DEP_4) | instskip(NEXT) | instid1(VALU_DEP_2)
	v_fma_f32 v63, -0.5, v66, v70
	v_dual_add_f32 v55, v64, v65 :: v_dual_fmamk_f32 v64, v151, 0xbf737871, v62
	s_delay_alu instid0(VALU_DEP_2) | instskip(SKIP_1) | instid1(VALU_DEP_3)
	v_dual_fmac_f32 v62, 0x3f737871, v151 :: v_dual_fmamk_f32 v65, v152, 0x3f737871, v63
	v_fmac_f32_e32 v63, 0xbf737871, v152
	v_fmac_f32_e32 v64, 0x3f167918, v149
	s_delay_alu instid0(VALU_DEP_3) | instskip(NEXT) | instid1(VALU_DEP_3)
	v_dual_fmac_f32 v62, 0xbf167918, v149 :: v_dual_fmac_f32 v65, 0xbf167918, v150
	v_fmac_f32_e32 v63, 0x3f167918, v150
	s_delay_alu instid0(VALU_DEP_3) | instskip(NEXT) | instid1(VALU_DEP_3)
	v_fmac_f32_e32 v64, 0x3e9e377a, v89
	v_dual_fmac_f32 v62, 0x3e9e377a, v89 :: v_dual_fmac_f32 v65, 0x3e9e377a, v55
	s_delay_alu instid0(VALU_DEP_3) | instskip(SKIP_2) | instid1(VALU_DEP_1)
	v_fmac_f32_e32 v63, 0x3e9e377a, v55
	ds_store_2addr_b64 v153, v[64:65], v[62:63] offset0:18 offset1:27
	v_dual_mul_f32 v64, v73, v37 :: v_dual_fmac_f32 v53, 0xbf167918, v151
	v_dual_fmac_f32 v64, v74, v36 :: v_dual_fmac_f32 v53, 0x3e9e377a, v137
	s_delay_alu instid0(VALU_DEP_1) | instskip(SKIP_3) | instid1(VALU_DEP_2)
	v_dual_mul_f32 v65, v81, v5 :: v_dual_sub_f32 v70, v59, v64
	ds_store_b64 v153, v[53:54] offset:288
	v_and_b32_e32 v53, 0xffff, v57
	v_fmac_f32_e32 v65, v82, v4
	v_mul_u32_u24_e32 v53, 45, v53
	s_delay_alu instid0(VALU_DEP_2) | instskip(NEXT) | instid1(VALU_DEP_2)
	v_add_f32_e32 v66, v72, v65
	v_add_lshl_u32 v89, v53, v58, 3
	v_mul_f32_e32 v53, v74, v37
	s_delay_alu instid0(VALU_DEP_1) | instskip(SKIP_1) | instid1(VALU_DEP_2)
	v_fma_f32 v55, v73, v36, -v53
	v_mul_f32_e32 v53, v82, v5
	v_dual_sub_f32 v69, v64, v60 :: v_dual_sub_f32 v74, v61, v55
	s_delay_alu instid0(VALU_DEP_2) | instskip(SKIP_2) | instid1(VALU_DEP_3)
	v_fma_f32 v62, v81, v4, -v53
	v_add_f32_e32 v53, v61, v55
	v_sub_f32_e32 v57, v55, v99
	v_dual_add_f32 v54, v62, v99 :: v_dual_add_f32 v63, v71, v62
	s_delay_alu instid0(VALU_DEP_3) | instskip(SKIP_1) | instid1(VALU_DEP_3)
	v_fma_f32 v53, -0.5, v53, v71
	v_sub_f32_e32 v81, v62, v99
	v_fma_f32 v71, -0.5, v54, v71
	v_sub_f32_e32 v54, v61, v62
	v_sub_f32_e32 v62, v62, v61
	s_delay_alu instid0(VALU_DEP_2) | instskip(SKIP_2) | instid1(VALU_DEP_2)
	v_add_f32_e32 v58, v54, v57
	v_add_f32_e32 v54, v59, v64
	;; [unrolled: 1-line block ×3, first 2 shown]
	v_fma_f32 v54, -0.5, v54, v72
	s_delay_alu instid0(VALU_DEP_2) | instskip(SKIP_3) | instid1(VALU_DEP_3)
	v_fmac_f32_e32 v72, -0.5, v57
	v_sub_f32_e32 v57, v59, v65
	v_sub_f32_e32 v73, v65, v60
	v_mul_f32_e32 v82, v85, v103
	v_add_f32_e32 v69, v57, v69
	v_fmamk_f32 v57, v70, 0xbf737871, v71
	v_fmac_f32_e32 v71, 0x3f737871, v70
	s_delay_alu instid0(VALU_DEP_2) | instskip(NEXT) | instid1(VALU_DEP_2)
	v_dual_fmac_f32 v82, v86, v102 :: v_dual_fmac_f32 v57, 0x3f167918, v73
	v_fmac_f32_e32 v71, 0xbf167918, v73
	s_delay_alu instid0(VALU_DEP_2) | instskip(NEXT) | instid1(VALU_DEP_2)
	v_fmac_f32_e32 v57, 0x3e9e377a, v58
	v_fmac_f32_e32 v71, 0x3e9e377a, v58
	v_fmamk_f32 v58, v74, 0x3f737871, v72
	v_fmac_f32_e32 v72, 0xbf737871, v74
	s_delay_alu instid0(VALU_DEP_2) | instskip(NEXT) | instid1(VALU_DEP_2)
	v_fmac_f32_e32 v58, 0xbf167918, v81
	v_fmac_f32_e32 v72, 0x3f167918, v81
	s_delay_alu instid0(VALU_DEP_2) | instskip(NEXT) | instid1(VALU_DEP_2)
	v_fmac_f32_e32 v58, 0x3e9e377a, v69
	v_fmac_f32_e32 v72, 0x3e9e377a, v69
	ds_store_2addr_b64 v89, v[57:58], v[71:72] offset0:18 offset1:27
	v_dual_mul_f32 v57, v84, v101 :: v_dual_add_f32 v58, v66, v59
	v_mul_f32_e32 v71, v83, v101
	s_delay_alu instid0(VALU_DEP_2) | instskip(NEXT) | instid1(VALU_DEP_3)
	v_fma_f32 v69, v83, v100, -v57
	v_dual_mul_f32 v57, v76, v113 :: v_dual_add_f32 v58, v58, v64
	s_delay_alu instid0(VALU_DEP_3) | instskip(NEXT) | instid1(VALU_DEP_2)
	v_dual_fmac_f32 v71, v84, v100 :: v_dual_mul_f32 v84, v87, v107
	v_fma_f32 v72, v75, v112, -v57
	v_mul_f32_e32 v75, v75, v113
	v_mul_f32_e32 v57, v86, v103
	v_add_f32_e32 v58, v58, v60
	v_dual_sub_f32 v60, v60, v64 :: v_dual_sub_f32 v59, v65, v59
	s_delay_alu instid0(VALU_DEP_4) | instskip(NEXT) | instid1(VALU_DEP_4)
	v_fmac_f32_e32 v75, v76, v112
	v_fma_f32 v76, v85, v102, -v57
	v_mul_f32_e32 v57, v88, v107
	v_mul_f32_e32 v86, v91, v115
	v_fmac_f32_e32 v84, v88, v106
	v_mul_f32_e32 v88, v93, v119
	v_sub_f32_e32 v64, v82, v75
	v_fma_f32 v83, v87, v106, -v57
	v_mul_f32_e32 v57, v92, v115
	v_fmac_f32_e32 v86, v92, v114
	v_fmac_f32_e32 v88, v94, v118
	s_delay_alu instid0(VALU_DEP_3) | instskip(NEXT) | instid1(VALU_DEP_3)
	v_fma_f32 v85, v91, v114, -v57
	v_dual_mul_f32 v57, v94, v119 :: v_dual_add_f32 v66, v71, v86
	s_delay_alu instid0(VALU_DEP_1) | instskip(SKIP_4) | instid1(VALU_DEP_3)
	v_fma_f32 v87, v93, v118, -v57
	v_add_f32_e32 v57, v63, v61
	v_dual_add_f32 v61, v59, v60 :: v_dual_fmamk_f32 v60, v81, 0xbf737871, v54
	v_dual_fmac_f32 v54, 0x3f737871, v81 :: v_dual_fmamk_f32 v59, v73, 0x3f737871, v53
	v_fmac_f32_e32 v53, 0xbf737871, v73
	v_dual_sub_f32 v63, v69, v85 :: v_dual_fmac_f32 v60, 0xbf167918, v74
	s_delay_alu instid0(VALU_DEP_3) | instskip(SKIP_1) | instid1(VALU_DEP_4)
	v_dual_fmac_f32 v54, 0x3f167918, v74 :: v_dual_add_f32 v57, v57, v55
	v_sub_f32_e32 v55, v99, v55
	v_fmac_f32_e32 v53, 0xbf167918, v70
	v_fmac_f32_e32 v59, 0x3f167918, v70
	s_delay_alu instid0(VALU_DEP_4) | instskip(NEXT) | instid1(VALU_DEP_4)
	v_dual_fmac_f32 v54, 0x3e9e377a, v61 :: v_dual_add_f32 v57, v57, v99
	v_dual_add_f32 v55, v62, v55 :: v_dual_sub_f32 v62, v71, v86
	v_sub_f32_e32 v65, v76, v72
	s_delay_alu instid0(VALU_DEP_2) | instskip(SKIP_3) | instid1(VALU_DEP_1)
	v_fmac_f32_e32 v53, 0x3e9e377a, v55
	v_fmac_f32_e32 v59, 0x3e9e377a, v55
	ds_store_b64 v89, v[53:54] offset:288
	v_dual_sub_f32 v54, v85, v72 :: v_dual_and_b32 v53, 0xffff, v143
	v_mul_u32_u24_e32 v53, 45, v53
	s_delay_alu instid0(VALU_DEP_1) | instskip(SKIP_4) | instid1(VALU_DEP_2)
	v_add_lshl_u32 v73, v53, v147, 3
	v_sub_f32_e32 v53, v69, v76
	scratch_store_b32 off, v73, off offset:236 ; 4-byte Folded Spill
	v_dual_add_f32 v55, v53, v54 :: v_dual_add_f32 v54, v82, v75
	v_dual_fmac_f32 v60, 0x3e9e377a, v61 :: v_dual_add_f32 v53, v76, v72
	v_fma_f32 v54, -0.5, v54, v78
	ds_store_2addr_b64 v89, v[57:58], v[59:60] offset1:9
	v_dual_sub_f32 v57, v71, v82 :: v_dual_sub_f32 v58, v86, v75
	v_fma_f32 v53, -0.5, v53, v77
	s_delay_alu instid0(VALU_DEP_2) | instskip(SKIP_1) | instid1(VALU_DEP_3)
	v_dual_fmamk_f32 v60, v63, 0xbf737871, v54 :: v_dual_add_f32 v61, v57, v58
	v_dual_add_f32 v57, v77, v69 :: v_dual_add_f32 v58, v78, v71
	v_fmamk_f32 v59, v62, 0x3f737871, v53
	s_delay_alu instid0(VALU_DEP_2) | instskip(NEXT) | instid1(VALU_DEP_2)
	v_dual_fmac_f32 v60, 0xbf167918, v65 :: v_dual_add_f32 v57, v57, v76
	v_dual_add_f32 v58, v58, v82 :: v_dual_fmac_f32 v59, 0x3f167918, v64
	s_delay_alu instid0(VALU_DEP_2) | instskip(NEXT) | instid1(VALU_DEP_2)
	v_dual_fmac_f32 v60, 0x3e9e377a, v61 :: v_dual_add_f32 v57, v57, v72
	v_add_f32_e32 v58, v58, v75
	s_delay_alu instid0(VALU_DEP_3) | instskip(NEXT) | instid1(VALU_DEP_2)
	v_fmac_f32_e32 v59, 0x3e9e377a, v55
	v_dual_add_f32 v57, v57, v85 :: v_dual_add_f32 v58, v58, v86
	ds_store_2addr_b64 v73, v[57:58], v[59:60] offset1:9
	v_sub_f32_e32 v57, v76, v69
	v_sub_f32_e32 v58, v72, v85
	v_dual_add_f32 v59, v69, v85 :: v_dual_sub_f32 v60, v82, v71
	v_sub_f32_e32 v69, v75, v86
	s_delay_alu instid0(VALU_DEP_3) | instskip(SKIP_1) | instid1(VALU_DEP_4)
	v_add_f32_e32 v70, v57, v58
	v_fma_f32 v58, -0.5, v66, v78
	v_fma_f32 v57, -0.5, v59, v77
	s_delay_alu instid0(VALU_DEP_4) | instskip(NEXT) | instid1(VALU_DEP_3)
	v_add_f32_e32 v66, v60, v69
	v_fmamk_f32 v60, v65, 0x3f737871, v58
	s_delay_alu instid0(VALU_DEP_3) | instskip(SKIP_1) | instid1(VALU_DEP_2)
	v_dual_fmac_f32 v58, 0xbf737871, v65 :: v_dual_fmamk_f32 v59, v64, 0xbf737871, v57
	v_fmac_f32_e32 v57, 0x3f737871, v64
	v_fmac_f32_e32 v58, 0x3f167918, v63
	s_delay_alu instid0(VALU_DEP_2) | instskip(NEXT) | instid1(VALU_DEP_2)
	v_fmac_f32_e32 v57, 0xbf167918, v62
	v_fmac_f32_e32 v58, 0x3e9e377a, v66
	;; [unrolled: 1-line block ×4, first 2 shown]
	s_delay_alu instid0(VALU_DEP_4) | instskip(NEXT) | instid1(VALU_DEP_3)
	v_fmac_f32_e32 v57, 0x3e9e377a, v70
	v_fmac_f32_e32 v54, 0x3f167918, v65
	s_delay_alu instid0(VALU_DEP_3) | instskip(NEXT) | instid1(VALU_DEP_2)
	v_fmac_f32_e32 v60, 0x3e9e377a, v66
	v_fmac_f32_e32 v54, 0x3e9e377a, v61
	v_mul_f32_e32 v61, v128, v117
	s_delay_alu instid0(VALU_DEP_1) | instskip(SKIP_2) | instid1(VALU_DEP_2)
	v_fmac_f32_e32 v61, v129, v116
	v_fmac_f32_e32 v53, 0xbf737871, v62
	v_dual_fmac_f32 v59, 0x3f167918, v62 :: v_dual_mul_f32 v62, v95, v105
	v_fmac_f32_e32 v53, 0xbf167918, v64
	s_delay_alu instid0(VALU_DEP_4) | instskip(NEXT) | instid1(VALU_DEP_3)
	v_sub_f32_e32 v64, v61, v88
	v_dual_fmac_f32 v62, v96, v104 :: v_dual_fmac_f32 v59, 0x3e9e377a, v70
	s_delay_alu instid0(VALU_DEP_1)
	v_dual_fmac_f32 v53, 0x3e9e377a, v55 :: v_dual_sub_f32 v66, v62, v88
	ds_store_2addr_b64 v73, v[59:60], v[57:58] offset0:18 offset1:27
	v_add_f32_e32 v63, v80, v62
	ds_store_b64 v73, v[53:54] offset:288
	v_and_b32_e32 v53, 0xffff, v144
	v_sub_f32_e32 v65, v84, v61
	v_mul_f32_e32 v73, v130, v121
	s_delay_alu instid0(VALU_DEP_3) | instskip(NEXT) | instid1(VALU_DEP_2)
	v_mul_u32_u24_e32 v53, 45, v53
	v_fmac_f32_e32 v73, v131, v120
	s_delay_alu instid0(VALU_DEP_2)
	v_add_lshl_u32 v74, v53, v148, 3
	v_mul_f32_e32 v53, v129, v117
	s_clause 0x1
	scratch_store_b32 off, v153, off offset:240
	scratch_store_b32 off, v74, off offset:244
	v_fma_f32 v55, v128, v116, -v53
	s_delay_alu instid0(VALU_DEP_1) | instskip(SKIP_1) | instid1(VALU_DEP_1)
	v_sub_f32_e32 v69, v83, v55
	v_mul_f32_e32 v53, v96, v105
	v_fma_f32 v59, v95, v104, -v53
	v_add_f32_e32 v53, v83, v55
	s_delay_alu instid0(VALU_DEP_2) | instskip(SKIP_1) | instid1(VALU_DEP_3)
	v_add_f32_e32 v54, v59, v87
	v_add_f32_e32 v60, v79, v59
	v_fma_f32 v53, -0.5, v53, v79
	v_sub_f32_e32 v70, v59, v87
	v_sub_f32_e32 v57, v55, v87
	v_fma_f32 v79, -0.5, v54, v79
	v_sub_f32_e32 v54, v83, v59
	s_delay_alu instid0(VALU_DEP_1) | instskip(SKIP_1) | instid1(VALU_DEP_1)
	v_dual_sub_f32 v59, v59, v83 :: v_dual_add_f32 v58, v54, v57
	v_dual_add_f32 v54, v84, v61 :: v_dual_add_f32 v57, v62, v88
	v_fma_f32 v54, -0.5, v54, v80
	s_delay_alu instid0(VALU_DEP_2) | instskip(NEXT) | instid1(VALU_DEP_1)
	v_dual_fmac_f32 v80, -0.5, v57 :: v_dual_sub_f32 v57, v84, v62
	v_add_f32_e32 v64, v57, v64
	v_fmamk_f32 v57, v65, 0xbf737871, v79
	v_fmac_f32_e32 v79, 0x3f737871, v65
	s_delay_alu instid0(VALU_DEP_2) | instskip(NEXT) | instid1(VALU_DEP_2)
	v_fmac_f32_e32 v57, 0x3f167918, v66
	v_fmac_f32_e32 v79, 0xbf167918, v66
	s_delay_alu instid0(VALU_DEP_2) | instskip(NEXT) | instid1(VALU_DEP_2)
	v_fmac_f32_e32 v57, 0x3e9e377a, v58
	v_fmac_f32_e32 v79, 0x3e9e377a, v58
	v_fmamk_f32 v58, v69, 0x3f737871, v80
	v_fmac_f32_e32 v80, 0xbf737871, v69
	s_delay_alu instid0(VALU_DEP_2) | instskip(NEXT) | instid1(VALU_DEP_2)
	v_fmac_f32_e32 v58, 0xbf167918, v70
	v_fmac_f32_e32 v80, 0x3f167918, v70
	s_delay_alu instid0(VALU_DEP_2) | instskip(NEXT) | instid1(VALU_DEP_2)
	v_fmac_f32_e32 v58, 0x3e9e377a, v64
	v_fmac_f32_e32 v80, 0x3e9e377a, v64
	ds_store_2addr_b64 v74, v[57:58], v[79:80] offset0:18 offset1:27
	v_dual_mul_f32 v57, v98, v109 :: v_dual_add_f32 v58, v63, v84
	s_delay_alu instid0(VALU_DEP_1) | instskip(NEXT) | instid1(VALU_DEP_2)
	v_fma_f32 v64, v97, v108, -v57
	v_dual_mul_f32 v57, v68, v111 :: v_dual_add_f32 v58, v58, v61
	v_sub_f32_e32 v61, v88, v61
	s_delay_alu instid0(VALU_DEP_2) | instskip(SKIP_1) | instid1(VALU_DEP_4)
	v_fma_f32 v72, v67, v110, -v57
	v_mul_f32_e32 v67, v67, v111
	v_dual_mul_f32 v57, v131, v121 :: v_dual_add_f32 v58, v58, v88
	s_delay_alu instid0(VALU_DEP_2) | instskip(NEXT) | instid1(VALU_DEP_2)
	v_fmac_f32_e32 v67, v68, v110
	v_fma_f32 v68, v130, v120, -v57
	v_dual_add_f32 v57, v60, v83 :: v_dual_sub_f32 v60, v62, v84
	v_mul_f32_e32 v71, v97, v109
	s_delay_alu instid0(VALU_DEP_2) | instskip(SKIP_1) | instid1(VALU_DEP_4)
	v_add_f32_e32 v57, v57, v55
	v_sub_f32_e32 v55, v87, v55
	v_dual_add_f32 v61, v60, v61 :: v_dual_fmamk_f32 v60, v70, 0xbf737871, v54
	s_delay_alu instid0(VALU_DEP_4) | instskip(NEXT) | instid1(VALU_DEP_3)
	v_dual_fmac_f32 v54, 0x3f737871, v70 :: v_dual_fmac_f32 v71, v98, v108
	v_add_f32_e32 v55, v59, v55
	v_fmamk_f32 v59, v66, 0x3f737871, v53
	v_fmac_f32_e32 v53, 0xbf737871, v66
	s_delay_alu instid0(VALU_DEP_4) | instskip(SKIP_1) | instid1(VALU_DEP_4)
	v_fmac_f32_e32 v54, 0x3f167918, v69
	v_fmac_f32_e32 v60, 0xbf167918, v69
	;; [unrolled: 1-line block ×3, first 2 shown]
	s_delay_alu instid0(VALU_DEP_4) | instskip(NEXT) | instid1(VALU_DEP_4)
	v_fmac_f32_e32 v53, 0xbf167918, v65
	v_fmac_f32_e32 v54, 0x3e9e377a, v61
	s_delay_alu instid0(VALU_DEP_4) | instskip(NEXT) | instid1(VALU_DEP_4)
	v_dual_fmac_f32 v60, 0x3e9e377a, v61 :: v_dual_sub_f32 v65, v72, v68
	v_fmac_f32_e32 v59, 0x3e9e377a, v55
	s_delay_alu instid0(VALU_DEP_4) | instskip(SKIP_2) | instid1(VALU_DEP_1)
	v_fmac_f32_e32 v53, 0x3e9e377a, v55
	ds_store_b64 v74, v[53:54] offset:288
	v_add_f32_e32 v53, v72, v68
	v_fma_f32 v142, -0.5, v53, v140
	v_add_f32_e32 v57, v57, v87
	ds_store_2addr_b64 v74, v[57:58], v[59:60] offset1:9
	v_mul_f32_e32 v57, v135, v123
	v_mul_f32_e32 v58, v134, v123
	s_delay_alu instid0(VALU_DEP_2) | instskip(NEXT) | instid1(VALU_DEP_2)
	v_fma_f32 v57, v134, v122, -v57
	v_fmac_f32_e32 v58, v135, v122
	s_delay_alu instid0(VALU_DEP_1) | instskip(SKIP_1) | instid1(VALU_DEP_2)
	v_dual_sub_f32 v54, v57, v68 :: v_dual_sub_f32 v61, v71, v58
	v_sub_f32_e32 v53, v64, v72
	v_dual_sub_f32 v63, v64, v57 :: v_dual_fmamk_f32 v128, v61, 0x3f737871, v142
	s_delay_alu instid0(VALU_DEP_2) | instskip(SKIP_3) | instid1(VALU_DEP_3)
	v_add_f32_e32 v55, v53, v54
	v_add_f32_e32 v54, v141, v71
	v_sub_f32_e32 v62, v67, v73
	v_dual_sub_f32 v59, v71, v67 :: v_dual_fmac_f32 v142, 0xbf737871, v61
	v_add_f32_e32 v54, v54, v67
	s_delay_alu instid0(VALU_DEP_3) | instskip(NEXT) | instid1(VALU_DEP_3)
	v_fmac_f32_e32 v128, 0x3f167918, v62
	v_fmac_f32_e32 v142, 0xbf167918, v62
	s_delay_alu instid0(VALU_DEP_2) | instskip(SKIP_2) | instid1(VALU_DEP_3)
	v_dual_fmac_f32 v128, 0x3e9e377a, v55 :: v_dual_add_f32 v53, v67, v73
	v_sub_f32_e32 v60, v58, v73
	v_add_f32_e32 v54, v54, v73
	v_fma_f32 v143, -0.5, v53, v141
	v_add_f32_e32 v53, v140, v64
	s_delay_alu instid0(VALU_DEP_4) | instskip(SKIP_1) | instid1(VALU_DEP_4)
	v_add_f32_e32 v59, v59, v60
	v_mad_u16 v60, v145, 45, v146
	v_dual_add_f32 v54, v54, v58 :: v_dual_fmamk_f32 v129, v63, 0xbf737871, v143
	s_delay_alu instid0(VALU_DEP_4) | instskip(SKIP_1) | instid1(VALU_DEP_4)
	v_add_f32_e32 v53, v53, v72
	v_fmac_f32_e32 v143, 0x3f737871, v63
	v_and_b32_e32 v60, 0xffff, v60
	s_delay_alu instid0(VALU_DEP_4) | instskip(NEXT) | instid1(VALU_DEP_4)
	v_fmac_f32_e32 v129, 0xbf167918, v65
	v_add_f32_e32 v53, v53, v68
	s_delay_alu instid0(VALU_DEP_3)
	v_dual_fmac_f32 v143, 0x3f167918, v65 :: v_dual_lshlrev_b32 v60, 3, v60
	scratch_store_b32 off, v89, off offset:252 ; 4-byte Folded Spill
	v_fmac_f32_e32 v129, 0x3e9e377a, v59
	v_add_f32_e32 v53, v53, v57
	v_fmac_f32_e32 v143, 0x3e9e377a, v59
	scratch_store_b32 off, v60, off offset:256 ; 4-byte Folded Spill
	ds_store_2addr_b64 v60, v[53:54], v[128:129] offset1:9
	v_add_f32_e32 v53, v64, v57
	v_dual_sub_f32 v54, v68, v57 :: v_dual_add_f32 v57, v71, v58
	v_sub_f32_e32 v58, v73, v58
	s_delay_alu instid0(VALU_DEP_3) | instskip(SKIP_1) | instid1(VALU_DEP_2)
	v_fma_f32 v140, -0.5, v53, v140
	v_sub_f32_e32 v53, v72, v64
	v_dual_fmac_f32 v141, -0.5, v57 :: v_dual_fmamk_f32 v130, v62, 0xbf737871, v140
	s_delay_alu instid0(VALU_DEP_2) | instskip(NEXT) | instid1(VALU_DEP_2)
	v_add_f32_e32 v53, v53, v54
	v_dual_fmac_f32 v140, 0x3f737871, v62 :: v_dual_fmamk_f32 v131, v65, 0x3f737871, v141
	v_fmac_f32_e32 v141, 0xbf737871, v65
	s_delay_alu instid0(VALU_DEP_4) | instskip(NEXT) | instid1(VALU_DEP_3)
	v_fmac_f32_e32 v130, 0x3f167918, v61
	v_dual_fmac_f32 v140, 0xbf167918, v61 :: v_dual_fmac_f32 v131, 0xbf167918, v63
	s_delay_alu instid0(VALU_DEP_3) | instskip(NEXT) | instid1(VALU_DEP_3)
	v_fmac_f32_e32 v141, 0x3f167918, v63
	v_fmac_f32_e32 v130, 0x3e9e377a, v53
	;; [unrolled: 1-line block ×3, first 2 shown]
	s_delay_alu instid0(VALU_DEP_4) | instskip(SKIP_2) | instid1(VALU_DEP_1)
	v_dual_sub_f32 v55, v67, v71 :: v_dual_fmac_f32 v140, 0x3e9e377a, v53
	ds_store_b64 v60, v[142:143] offset:288
	v_add_f32_e32 v54, v55, v58
	v_fmac_f32_e32 v131, 0x3e9e377a, v54
	v_fmac_f32_e32 v141, 0x3e9e377a, v54
	ds_store_2addr_b64 v60, v[130:131], v[140:141] offset0:18 offset1:27
	s_waitcnt lgkmcnt(0)
	s_waitcnt_vscnt null, 0x0
	s_barrier
	buffer_gl0_inv
	ds_load_b64 v[152:153], v255 offset:11808
                                        ; implicit-def: $vgpr154
	ds_load_2addr_b64 v[68:71], v164 offset0:66 offset1:129
	ds_load_2addr_b64 v[144:147], v56 offset0:64 offset1:163
	;; [unrolled: 1-line block ×8, first 2 shown]
	ds_load_2addr_b64 v[136:139], v255 offset1:63
	ds_load_2addr_b64 v[132:135], v255 offset0:126 offset1:225
	s_and_saveexec_b32 s1, s0
	s_cbranch_execz .LBB0_13
; %bb.12:
	v_add_nc_u32_e32 v52, 0x500, v255
	v_add_nc_u32_e32 v53, 0x1380, v255
	;; [unrolled: 1-line block ×3, first 2 shown]
	ds_load_2addr_b64 v[128:131], v52 offset0:29 offset1:254
	ds_load_2addr_b64 v[140:143], v53 offset0:15 offset1:240
	;; [unrolled: 1-line block ×3, first 2 shown]
	ds_load_b64 v[154:155], v255 offset:12312
.LBB0_13:
	s_or_b32 exec_lo, exec_lo, s1
	v_mul_lo_u16 v52, 0x6d, v90
	v_cmp_gt_u16_e64 s1, 45, v242
	s_delay_alu instid0(VALU_DEP_2) | instskip(NEXT) | instid1(VALU_DEP_1)
	v_lshrrev_b16 v52, 8, v52
	v_sub_nc_u16 v53, v159, v52
	s_delay_alu instid0(VALU_DEP_1) | instskip(NEXT) | instid1(VALU_DEP_1)
	v_lshrrev_b16 v53, 1, v53
	v_and_b32_e32 v53, 0x7f, v53
	s_delay_alu instid0(VALU_DEP_1) | instskip(SKIP_1) | instid1(VALU_DEP_2)
	v_add_nc_u16 v62, v53, v52
	v_subrev_nc_u32_e32 v52, 45, v242
	v_lshrrev_b16 v162, 5, v62
	s_delay_alu instid0(VALU_DEP_2) | instskip(NEXT) | instid1(VALU_DEP_2)
	v_cndmask_b32_e64 v164, v52, v242, s1
	v_mul_lo_u16 v62, v162, 45
	s_delay_alu instid0(VALU_DEP_2) | instskip(SKIP_1) | instid1(VALU_DEP_3)
	v_mul_i32_i24_e32 v52, 48, v164
	v_mul_hi_i32_i24_e32 v53, 48, v164
	v_sub_nc_u16 v62, v159, v62
	s_delay_alu instid0(VALU_DEP_3) | instskip(NEXT) | instid1(VALU_DEP_1)
	v_add_co_u32 v52, s1, s2, v52
	v_add_co_ci_u32_e64 v53, s1, s3, v53, s1
	s_delay_alu instid0(VALU_DEP_3)
	v_and_b32_e32 v163, 0xff, v62
	v_cmp_lt_u16_e64 s1, 44, v242
	s_clause 0x1
	global_load_b128 v[64:67], v[52:53], off offset:336
	global_load_b128 v[88:91], v[52:53], off offset:352
	s_waitcnt vmcnt(1) lgkmcnt(9)
	v_mul_f32_e32 v62, v69, v67
	s_waitcnt vmcnt(0) lgkmcnt(7)
	v_mul_f32_e32 v183, v80, v91
	s_delay_alu instid0(VALU_DEP_2)
	v_fma_f32 v178, v68, v66, -v62
	v_mad_u64_u32 v[62:63], null, v163, 48, s[2:3]
	s_clause 0x1
	global_load_b128 v[92:95], v[52:53], off offset:368
	global_load_b128 v[84:87], v[62:63], off offset:336
	s_waitcnt vmcnt(0)
	v_dual_fmac_f32 v183, v81, v90 :: v_dual_mul_f32 v52, v71, v87
	v_mul_f32_e32 v168, v70, v87
	v_mul_f32_e32 v179, v68, v67
	s_waitcnt lgkmcnt(5)
	v_mul_f32_e32 v177, v148, v85
	v_fma_f32 v167, v70, v86, -v52
	v_fmac_f32_e32 v168, v71, v86
	v_fmac_f32_e32 v179, v69, v66
	s_clause 0x1
	global_load_b128 v[72:75], v[62:63], off offset:352
	global_load_b128 v[68:71], v[62:63], off offset:368
	v_mul_f32_e32 v52, v81, v91
	v_fmac_f32_e32 v177, v149, v84
	s_delay_alu instid0(VALU_DEP_2) | instskip(SKIP_2) | instid1(VALU_DEP_1)
	v_fma_f32 v182, v80, v90, -v52
	s_waitcnt vmcnt(0) lgkmcnt(2)
	v_dual_mul_f32 v52, v83, v75 :: v_dual_mul_f32 v187, v54, v69
	v_fma_f32 v171, v82, v74, -v52
	s_delay_alu instid0(VALU_DEP_2) | instskip(NEXT) | instid1(VALU_DEP_1)
	v_dual_mul_f32 v52, v77, v95 :: v_dual_fmac_f32 v187, v55, v68
	v_fma_f32 v184, v76, v94, -v52
	v_mul_f32_e32 v52, v79, v71
	s_delay_alu instid0(VALU_DEP_1) | instskip(SKIP_1) | instid1(VALU_DEP_1)
	v_fma_f32 v173, v78, v70, -v52
	v_mul_lo_u16 v52, 0x6d, v161
	v_lshrrev_b16 v52, 8, v52
	s_delay_alu instid0(VALU_DEP_1) | instskip(NEXT) | instid1(VALU_DEP_1)
	v_sub_nc_u16 v53, v158, v52
	v_lshrrev_b16 v53, 1, v53
	s_delay_alu instid0(VALU_DEP_1) | instskip(NEXT) | instid1(VALU_DEP_1)
	v_and_b32_e32 v53, 0x7f, v53
	v_add_nc_u16 v52, v53, v52
	s_delay_alu instid0(VALU_DEP_1) | instskip(NEXT) | instid1(VALU_DEP_1)
	v_lshrrev_b16 v161, 5, v52
	v_mul_lo_u16 v52, v161, 45
	s_delay_alu instid0(VALU_DEP_1) | instskip(NEXT) | instid1(VALU_DEP_1)
	v_sub_nc_u16 v52, v158, v52
	v_dual_mul_f32 v174, v78, v71 :: v_dual_and_b32 v165, 0xff, v52
	v_dual_mul_f32 v52, v149, v85 :: v_dual_mul_f32 v185, v76, v95
	s_delay_alu instid0(VALU_DEP_2) | instskip(SKIP_1) | instid1(VALU_DEP_3)
	v_fmac_f32_e32 v174, v79, v70
	v_mul_f32_e32 v172, v82, v75
	v_fma_f32 v176, v148, v84, -v52
	s_delay_alu instid0(VALU_DEP_4) | instskip(SKIP_1) | instid1(VALU_DEP_4)
	v_fmac_f32_e32 v185, v77, v94
	v_mad_u64_u32 v[52:53], null, v165, 48, s[2:3]
	v_fmac_f32_e32 v172, v83, v74
	s_clause 0x1
	global_load_b128 v[76:79], v[52:53], off offset:336
	global_load_b128 v[80:83], v[52:53], off offset:352
	v_mul_f32_e32 v191, v60, v93
	v_mul_f32_e32 v189, v146, v89
	v_add_f32_e32 v205, v177, v174
	v_add_f32_e32 v201, v176, v173
	s_delay_alu instid0(VALU_DEP_4) | instskip(SKIP_4) | instid1(VALU_DEP_1)
	v_fmac_f32_e32 v191, v61, v92
	s_waitcnt vmcnt(1)
	v_mul_f32_e32 v149, v150, v77
	s_waitcnt vmcnt(0)
	v_mul_f32_e32 v166, v98, v81
	v_dual_mul_f32 v181, v96, v73 :: v_dual_fmac_f32 v166, v99, v80
	s_delay_alu instid0(VALU_DEP_1) | instskip(SKIP_2) | instid1(VALU_DEP_2)
	v_dual_mul_f32 v62, v151, v77 :: v_dual_fmac_f32 v181, v97, v72
	s_waitcnt lgkmcnt(0)
	v_mul_f32_e32 v192, v134, v65
	v_fma_f32 v148, v150, v76, -v62
	s_delay_alu instid0(VALU_DEP_3) | instskip(SKIP_1) | instid1(VALU_DEP_2)
	v_dual_add_f32 v207, v181, v172 :: v_dual_mul_f32 v62, v147, v89
	v_dual_mul_f32 v150, v144, v79 :: v_dual_fmac_f32 v189, v147, v88
	v_fma_f32 v188, v146, v88, -v62
	s_delay_alu instid0(VALU_DEP_2) | instskip(SKIP_1) | instid1(VALU_DEP_4)
	v_fmac_f32_e32 v150, v145, v78
	v_dual_mul_f32 v62, v145, v79 :: v_dual_fmac_f32 v149, v151, v76
	v_add_f32_e32 v199, v189, v183
	s_delay_alu instid0(VALU_DEP_4) | instskip(NEXT) | instid1(VALU_DEP_3)
	v_add_f32_e32 v195, v188, v182
	v_fma_f32 v147, v144, v78, -v62
	v_mul_f32_e32 v62, v97, v73
	s_delay_alu instid0(VALU_DEP_1) | instskip(NEXT) | instid1(VALU_DEP_1)
	v_fma_f32 v180, v96, v72, -v62
	v_dual_mul_f32 v62, v99, v81 :: v_dual_add_f32 v203, v180, v171
	s_delay_alu instid0(VALU_DEP_1) | instskip(SKIP_4) | instid1(VALU_DEP_3)
	v_fma_f32 v151, v98, v80, -v62
	global_load_b128 v[96:99], v[52:53], off offset:368
	v_mul_f32_e32 v62, v61, v93
	v_mul_f32_e32 v170, v58, v83
	v_fmac_f32_e32 v192, v135, v64
	v_fma_f32 v190, v60, v92, -v62
	s_delay_alu instid0(VALU_DEP_2) | instskip(NEXT) | instid1(VALU_DEP_2)
	v_dual_mul_f32 v60, v59, v83 :: v_dual_add_f32 v197, v192, v185
	v_add_f32_e32 v194, v178, v190
	s_delay_alu instid0(VALU_DEP_2) | instskip(SKIP_2) | instid1(VALU_DEP_3)
	v_fma_f32 v169, v58, v82, -v60
	v_mul_lo_u16 v58, 0x6d, v160
	v_add_f32_e32 v206, v168, v187
	v_dual_sub_f32 v178, v178, v190 :: v_dual_add_f32 v209, v151, v169
	s_delay_alu instid0(VALU_DEP_3) | instskip(SKIP_2) | instid1(VALU_DEP_2)
	v_lshrrev_b16 v58, 8, v58
	s_waitcnt vmcnt(0)
	v_dual_mul_f32 v175, v56, v97 :: v_dual_fmac_f32 v170, v59, v82
	v_sub_nc_u16 v59, v157, v58
	s_delay_alu instid0(VALU_DEP_2) | instskip(NEXT) | instid1(VALU_DEP_3)
	v_dual_fmac_f32 v175, v57, v96 :: v_dual_add_f32 v198, v179, v191
	v_add_f32_e32 v217, v166, v170
	s_delay_alu instid0(VALU_DEP_3) | instskip(SKIP_1) | instid1(VALU_DEP_4)
	v_lshrrev_b16 v59, 1, v59
	v_sub_f32_e32 v179, v179, v191
	v_add_f32_e32 v216, v150, v175
	s_delay_alu instid0(VALU_DEP_3) | instskip(NEXT) | instid1(VALU_DEP_1)
	v_and_b32_e32 v59, 0x7f, v59
	v_add_nc_u16 v58, v59, v58
	s_delay_alu instid0(VALU_DEP_1) | instskip(NEXT) | instid1(VALU_DEP_1)
	v_lshrrev_b16 v58, 5, v58
	v_mul_lo_u16 v58, v58, 45
	s_delay_alu instid0(VALU_DEP_1) | instskip(NEXT) | instid1(VALU_DEP_1)
	v_sub_nc_u16 v58, v157, v58
	v_dual_mul_f32 v58, v55, v69 :: v_dual_and_b32 v59, 0xff, v58
	s_delay_alu instid0(VALU_DEP_1) | instskip(NEXT) | instid1(VALU_DEP_2)
	v_mad_u64_u32 v[60:61], null, v59, 48, s[2:3]
	v_fma_f32 v186, v54, v68, -v58
	v_mul_f32_e32 v58, v57, v97
	scratch_store_b32 off, v59, off offset:248 ; 4-byte Folded Spill
	global_load_b128 v[52:55], v[60:61], off offset:336
	v_fma_f32 v160, v56, v96, -v58
	s_waitcnt vmcnt(0)
	v_mul_f32_e32 v56, v141, v55
	v_mul_f32_e32 v228, v130, v53
	s_delay_alu instid0(VALU_DEP_2)
	v_fma_f32 v144, v140, v54, -v56
	s_clause 0x1
	global_load_b128 v[56:59], v[60:61], off offset:352
	global_load_b128 v[60:63], v[60:61], off offset:368
	v_mul_f32_e32 v140, v140, v55
	v_fmac_f32_e32 v228, v131, v52
	s_waitcnt vmcnt(0)
	s_waitcnt_vscnt null, 0x0
	s_barrier
	buffer_gl0_inv
	v_dual_fmac_f32 v140, v141, v54 :: v_dual_mul_f32 v141, v143, v57
	v_mul_f32_e32 v145, v124, v59
	s_delay_alu instid0(VALU_DEP_2) | instskip(NEXT) | instid1(VALU_DEP_2)
	v_fma_f32 v141, v142, v56, -v141
	v_dual_mul_f32 v142, v142, v57 :: v_dual_fmac_f32 v145, v125, v58
	s_delay_alu instid0(VALU_DEP_1) | instskip(NEXT) | instid1(VALU_DEP_1)
	v_dual_fmac_f32 v142, v143, v56 :: v_dual_mul_f32 v143, v125, v59
	v_add_f32_e32 v234, v142, v145
	s_delay_alu instid0(VALU_DEP_2) | instskip(SKIP_1) | instid1(VALU_DEP_2)
	v_fma_f32 v143, v124, v58, -v143
	v_mul_f32_e32 v124, v127, v61
	v_add_f32_e32 v230, v141, v143
	s_delay_alu instid0(VALU_DEP_2) | instskip(SKIP_3) | instid1(VALU_DEP_3)
	v_fma_f32 v146, v126, v60, -v124
	v_mul_f32_e32 v126, v126, v61
	v_mul_f32_e32 v124, v135, v65
	v_add_f32_e32 v202, v167, v186
	v_dual_add_f32 v229, v144, v146 :: v_dual_fmac_f32 v126, v127, v60
	s_delay_alu instid0(VALU_DEP_3) | instskip(NEXT) | instid1(VALU_DEP_2)
	v_fma_f32 v127, v134, v64, -v124
	v_add_f32_e32 v233, v140, v126
	s_delay_alu instid0(VALU_DEP_2) | instskip(NEXT) | instid1(VALU_DEP_1)
	v_add_f32_e32 v193, v127, v184
	v_add_f32_e32 v124, v194, v193
	s_delay_alu instid0(VALU_DEP_1) | instskip(SKIP_1) | instid1(VALU_DEP_1)
	v_add_f32_e32 v196, v195, v124
	v_add_f32_e32 v124, v198, v197
	;; [unrolled: 1-line block ×3, first 2 shown]
	s_delay_alu instid0(VALU_DEP_1) | instskip(NEXT) | instid1(VALU_DEP_1)
	v_dual_add_f32 v124, v202, v201 :: v_dual_add_f32 v135, v137, v200
	v_add_f32_e32 v204, v203, v124
	v_add_f32_e32 v124, v206, v205
	s_delay_alu instid0(VALU_DEP_1) | instskip(NEXT) | instid1(VALU_DEP_1)
	v_add_f32_e32 v208, v207, v124
	v_dual_mul_f32 v124, v153, v99 :: v_dual_add_f32 v137, v139, v208
	v_mul_f32_e32 v139, v152, v99
	s_delay_alu instid0(VALU_DEP_1) | instskip(SKIP_1) | instid1(VALU_DEP_4)
	v_dual_fmac_f32 v139, v153, v98 :: v_dual_add_f32 v134, v136, v196
	v_add_f32_e32 v136, v138, v204
	v_fma_f32 v138, v152, v98, -v124
	v_add_f32_e32 v153, v147, v160
	s_delay_alu instid0(VALU_DEP_2) | instskip(NEXT) | instid1(VALU_DEP_1)
	v_dual_add_f32 v211, v149, v139 :: v_dual_add_f32 v152, v148, v138
	v_add_f32_e32 v124, v153, v152
	s_delay_alu instid0(VALU_DEP_1) | instskip(NEXT) | instid1(VALU_DEP_3)
	v_add_f32_e32 v210, v209, v124
	v_add_f32_e32 v124, v216, v211
	s_delay_alu instid0(VALU_DEP_1) | instskip(SKIP_1) | instid1(VALU_DEP_1)
	v_add_f32_e32 v226, v217, v124
	v_mul_f32_e32 v124, v155, v63
	v_fma_f32 v227, v154, v62, -v124
	v_mul_f32_e32 v154, v154, v63
	v_mul_f32_e32 v124, v131, v53
	s_delay_alu instid0(VALU_DEP_2) | instskip(NEXT) | instid1(VALU_DEP_2)
	v_fmac_f32_e32 v154, v155, v62
	v_fma_f32 v155, v130, v52, -v124
	v_sub_f32_e32 v130, v127, v184
	v_dual_sub_f32 v184, v199, v198 :: v_dual_sub_f32 v127, v193, v195
	s_delay_alu instid0(VALU_DEP_3) | instskip(NEXT) | instid1(VALU_DEP_1)
	v_dual_add_f32 v232, v228, v154 :: v_dual_add_f32 v131, v155, v227
	v_add_f32_e32 v124, v229, v131
	s_delay_alu instid0(VALU_DEP_1) | instskip(NEXT) | instid1(VALU_DEP_3)
	v_add_f32_e32 v231, v230, v124
	v_add_f32_e32 v124, v233, v232
	s_delay_alu instid0(VALU_DEP_1) | instskip(SKIP_1) | instid1(VALU_DEP_2)
	v_dual_add_f32 v235, v234, v124 :: v_dual_add_f32 v124, v128, v231
	v_cndmask_b32_e64 v128, 0, 0x13b, s1
	v_add_f32_e32 v125, v129, v235
	v_sub_f32_e32 v129, v183, v189
	s_delay_alu instid0(VALU_DEP_3)
	v_add_lshl_u32 v236, v164, v128, 3
	v_sub_f32_e32 v128, v182, v188
	v_sub_f32_e32 v164, v192, v185
	;; [unrolled: 1-line block ×5, first 2 shown]
	v_add_f32_e32 v185, v128, v178
	v_dual_sub_f32 v188, v128, v178 :: v_dual_sub_f32 v189, v130, v128
	v_dual_add_f32 v128, v129, v179 :: v_dual_sub_f32 v129, v164, v129
	v_add_f32_e32 v132, v132, v210
	v_mul_f32_e32 v192, 0x3f4a47b2, v127
	s_delay_alu instid0(VALU_DEP_4)
	v_mul_f32_e32 v188, 0xbf08b237, v188
	v_mul_f32_e32 v183, 0x3f4a47b2, v183
	;; [unrolled: 1-line block ×3, first 2 shown]
	v_fmamk_f32 v195, v196, 0xbf955555, v134
	v_fmamk_f32 v127, v182, 0x3d64c772, v192
	v_add_f32_e32 v185, v185, v130
	v_add_f32_e32 v191, v128, v164
	v_fmamk_f32 v196, v200, 0xbf955555, v135
	v_fmamk_f32 v199, v189, 0x3eae86e6, v188
	v_dual_fmamk_f32 v200, v129, 0x3eae86e6, v190 :: v_dual_add_f32 v237, v127, v195
	v_dual_fmamk_f32 v127, v184, 0x3d64c772, v183 :: v_dual_sub_f32 v130, v178, v130
	s_delay_alu instid0(VALU_DEP_2) | instskip(NEXT) | instid1(VALU_DEP_2)
	v_dual_fmac_f32 v199, 0x3ee1c552, v185 :: v_dual_fmac_f32 v200, 0x3ee1c552, v191
	v_dual_add_f32 v133, v133, v226 :: v_dual_add_f32 v238, v127, v196
	v_sub_f32_e32 v126, v140, v126
	s_delay_alu instid0(VALU_DEP_2) | instskip(SKIP_3) | instid1(VALU_DEP_1)
	v_dual_add_f32 v127, v200, v237 :: v_dual_sub_f32 v128, v238, v199
	ds_store_2addr_b64 v236, v[134:135], v[127:128] offset1:45
	v_sub_f32_e32 v127, v194, v193
	v_dual_mul_f32 v135, 0x3d64c772, v182 :: v_dual_sub_f32 v128, v198, v197
	v_fma_f32 v135, 0x3f3bfb3b, v127, -v135
	v_fma_f32 v127, 0xbf3bfb3b, v127, -v192
	s_delay_alu instid0(VALU_DEP_2) | instskip(SKIP_4) | instid1(VALU_DEP_4)
	v_add_f32_e32 v135, v135, v195
	v_sub_f32_e32 v134, v179, v164
	v_fma_f32 v164, 0x3f5ff5aa, v130, -v188
	v_mul_f32_e32 v130, 0x3f5ff5aa, v130
	v_add_f32_e32 v182, v127, v195
	v_fma_f32 v179, 0x3f5ff5aa, v134, -v190
	s_delay_alu instid0(VALU_DEP_4) | instskip(NEXT) | instid1(VALU_DEP_4)
	v_fmac_f32_e32 v164, 0x3ee1c552, v185
	v_fma_f32 v178, 0xbeae86e6, v189, -v130
	v_mul_f32_e32 v130, 0x3f5ff5aa, v134
	s_delay_alu instid0(VALU_DEP_2) | instskip(NEXT) | instid1(VALU_DEP_2)
	v_dual_fmac_f32 v179, 0x3ee1c552, v191 :: v_dual_fmac_f32 v178, 0x3ee1c552, v185
	v_fma_f32 v134, 0xbeae86e6, v129, -v130
	v_mul_f32_e32 v129, 0x3d64c772, v184
	s_delay_alu instid0(VALU_DEP_2) | instskip(NEXT) | instid1(VALU_DEP_2)
	v_fmac_f32_e32 v134, 0x3ee1c552, v191
	v_fma_f32 v129, 0x3f3bfb3b, v128, -v129
	v_fma_f32 v128, 0xbf3bfb3b, v128, -v183
	s_delay_alu instid0(VALU_DEP_2) | instskip(NEXT) | instid1(VALU_DEP_2)
	v_dual_add_f32 v127, v134, v182 :: v_dual_add_f32 v184, v129, v196
	v_add_f32_e32 v183, v128, v196
	s_delay_alu instid0(VALU_DEP_2) | instskip(NEXT) | instid1(VALU_DEP_2)
	v_dual_sub_f32 v129, v135, v179 :: v_dual_add_f32 v130, v164, v184
	v_sub_f32_e32 v128, v183, v178
	ds_store_2addr_b64 v236, v[127:128], v[129:130] offset0:90 offset1:135
	v_dual_add_f32 v127, v179, v135 :: v_dual_sub_f32 v128, v184, v164
	v_sub_f32_e32 v129, v182, v134
	v_add_f32_e32 v130, v178, v183
	v_sub_f32_e32 v134, v167, v186
	v_sub_f32_e32 v167, v207, v206
	;; [unrolled: 1-line block ×4, first 2 shown]
	ds_store_2addr_b64 v236, v[127:128], v[129:130] offset0:180 offset1:225
	v_dual_sub_f32 v127, v237, v200 :: v_dual_add_f32 v128, v199, v238
	v_dual_sub_f32 v129, v176, v173 :: v_dual_sub_f32 v130, v177, v174
	v_mul_f32_e32 v164, 0x3f4a47b2, v164
	v_fmamk_f32 v177, v204, 0xbf955555, v136
	ds_store_b64 v236, v[127:128] offset:2160
	v_dual_sub_f32 v128, v172, v181 :: v_dual_and_b32 v127, 0xffff, v162
	v_sub_f32_e32 v162, v201, v203
	v_fmamk_f32 v178, v208, 0xbf955555, v137
	s_delay_alu instid0(VALU_DEP_3) | instskip(NEXT) | instid1(VALU_DEP_3)
	v_mul_u32_u24_e32 v127, 0x13b, v127
	v_dual_sub_f32 v173, v128, v135 :: v_dual_mul_f32 v162, 0x3f4a47b2, v162
	v_sub_f32_e32 v174, v130, v128
	s_delay_alu instid0(VALU_DEP_3) | instskip(SKIP_2) | instid1(VALU_DEP_2)
	v_add_lshl_u32 v237, v127, v163, 3
	v_sub_f32_e32 v127, v171, v180
	v_sub_f32_e32 v163, v203, v202
	v_dual_mul_f32 v173, 0xbf08b237, v173 :: v_dual_add_f32 v168, v127, v134
	v_dual_sub_f32 v171, v127, v134 :: v_dual_sub_f32 v172, v129, v127
	s_delay_alu instid0(VALU_DEP_2) | instskip(NEXT) | instid1(VALU_DEP_2)
	v_dual_add_f32 v127, v128, v135 :: v_dual_fmamk_f32 v180, v174, 0x3eae86e6, v173
	v_dual_add_f32 v168, v168, v129 :: v_dual_mul_f32 v171, 0xbf08b237, v171
	s_delay_alu instid0(VALU_DEP_2) | instskip(SKIP_1) | instid1(VALU_DEP_3)
	v_dual_sub_f32 v129, v134, v129 :: v_dual_add_f32 v176, v127, v130
	v_dual_fmamk_f32 v127, v163, 0x3d64c772, v162 :: v_dual_mul_f32 v134, 0x3d64c772, v163
	v_fmamk_f32 v179, v172, 0x3eae86e6, v171
	s_delay_alu instid0(VALU_DEP_2) | instskip(SKIP_1) | instid1(VALU_DEP_1)
	v_dual_fmac_f32 v180, 0x3ee1c552, v176 :: v_dual_add_f32 v181, v127, v177
	v_fmamk_f32 v127, v167, 0x3d64c772, v164
	v_dual_fmac_f32 v179, 0x3ee1c552, v168 :: v_dual_add_f32 v182, v127, v178
	s_delay_alu instid0(VALU_DEP_1) | instskip(SKIP_3) | instid1(VALU_DEP_2)
	v_dual_add_f32 v127, v180, v181 :: v_dual_sub_f32 v128, v182, v179
	ds_store_2addr_b64 v237, v[136:137], v[127:128] offset1:45
	v_sub_f32_e32 v127, v202, v201
	v_sub_f32_e32 v128, v206, v205
	v_fma_f32 v134, 0x3f3bfb3b, v127, -v134
	v_fma_f32 v127, 0xbf3bfb3b, v127, -v162
	s_delay_alu instid0(VALU_DEP_2) | instskip(NEXT) | instid1(VALU_DEP_2)
	v_add_f32_e32 v134, v134, v177
	v_add_f32_e32 v163, v127, v177
	v_sub_f32_e32 v130, v135, v130
	v_fma_f32 v135, 0x3f5ff5aa, v129, -v171
	v_mul_f32_e32 v129, 0x3f5ff5aa, v129
	s_delay_alu instid0(VALU_DEP_3) | instskip(NEXT) | instid1(VALU_DEP_3)
	v_fma_f32 v137, 0x3f5ff5aa, v130, -v173
	v_fmac_f32_e32 v135, 0x3ee1c552, v168
	s_delay_alu instid0(VALU_DEP_3) | instskip(SKIP_1) | instid1(VALU_DEP_4)
	v_fma_f32 v136, 0xbeae86e6, v172, -v129
	v_mul_f32_e32 v129, 0x3f5ff5aa, v130
	v_fmac_f32_e32 v137, 0x3ee1c552, v176
	s_delay_alu instid0(VALU_DEP_3) | instskip(NEXT) | instid1(VALU_DEP_3)
	v_fmac_f32_e32 v136, 0x3ee1c552, v168
	v_fma_f32 v162, 0xbeae86e6, v174, -v129
	v_mul_f32_e32 v129, 0x3d64c772, v167
	s_delay_alu instid0(VALU_DEP_2) | instskip(NEXT) | instid1(VALU_DEP_2)
	v_fmac_f32_e32 v162, 0x3ee1c552, v176
	v_fma_f32 v129, 0x3f3bfb3b, v128, -v129
	v_fma_f32 v128, 0xbf3bfb3b, v128, -v164
	s_delay_alu instid0(VALU_DEP_3) | instskip(NEXT) | instid1(VALU_DEP_3)
	v_add_f32_e32 v127, v162, v163
	v_add_f32_e32 v167, v129, v178
	s_delay_alu instid0(VALU_DEP_3) | instskip(NEXT) | instid1(VALU_DEP_2)
	v_dual_add_f32 v164, v128, v178 :: v_dual_sub_f32 v129, v134, v137
	v_add_f32_e32 v130, v135, v167
	s_delay_alu instid0(VALU_DEP_2)
	v_sub_f32_e32 v128, v164, v136
	ds_store_2addr_b64 v237, v[127:128], v[129:130] offset0:90 offset1:135
	v_dual_add_f32 v127, v137, v134 :: v_dual_sub_f32 v128, v167, v135
	v_sub_f32_e32 v129, v163, v162
	v_sub_f32_e32 v134, v147, v160
	v_dual_add_f32 v130, v136, v164 :: v_dual_sub_f32 v135, v150, v175
	v_sub_f32_e32 v137, v209, v153
	ds_store_2addr_b64 v237, v[127:128], v[129:130] offset0:180 offset1:225
	v_dual_sub_f32 v127, v181, v180 :: v_dual_add_f32 v128, v179, v182
	v_dual_sub_f32 v129, v148, v138 :: v_dual_sub_f32 v130, v149, v139
	v_sub_f32_e32 v139, v217, v216
	ds_store_b64 v237, v[127:128] offset:2160
	v_dual_sub_f32 v128, v170, v166 :: v_dual_and_b32 v127, 0xffff, v161
	v_fmamk_f32 v161, v210, 0xbf955555, v132
	s_delay_alu instid0(VALU_DEP_2) | instskip(NEXT) | instid1(VALU_DEP_3)
	v_mul_u32_u24_e32 v127, 0x13b, v127
	v_sub_f32_e32 v150, v128, v135
	s_delay_alu instid0(VALU_DEP_2) | instskip(SKIP_1) | instid1(VALU_DEP_3)
	v_add_lshl_u32 v238, v127, v165, 3
	v_sub_f32_e32 v127, v169, v151
	v_dual_sub_f32 v151, v130, v128 :: v_dual_mul_f32 v150, 0xbf08b237, v150
	s_delay_alu instid0(VALU_DEP_2) | instskip(SKIP_1) | instid1(VALU_DEP_3)
	v_add_f32_e32 v147, v127, v134
	v_dual_sub_f32 v148, v127, v134 :: v_dual_sub_f32 v149, v129, v127
	v_dual_add_f32 v127, v128, v135 :: v_dual_fmamk_f32 v164, v151, 0x3eae86e6, v150
	s_delay_alu instid0(VALU_DEP_3) | instskip(SKIP_1) | instid1(VALU_DEP_4)
	v_add_f32_e32 v147, v147, v129
	v_sub_f32_e32 v136, v152, v209
	v_mul_f32_e32 v148, 0xbf08b237, v148
	s_delay_alu instid0(VALU_DEP_4) | instskip(SKIP_1) | instid1(VALU_DEP_4)
	v_add_f32_e32 v160, v127, v130
	v_dual_sub_f32 v130, v135, v130 :: v_dual_sub_f32 v129, v134, v129
	v_mul_f32_e32 v136, 0x3f4a47b2, v136
	s_delay_alu instid0(VALU_DEP_4) | instskip(NEXT) | instid1(VALU_DEP_4)
	v_fmamk_f32 v163, v149, 0x3eae86e6, v148
	v_fmac_f32_e32 v164, 0x3ee1c552, v160
	s_delay_alu instid0(VALU_DEP_4) | instskip(NEXT) | instid1(VALU_DEP_4)
	v_fma_f32 v135, 0x3f5ff5aa, v130, -v150
	v_fmamk_f32 v127, v137, 0x3d64c772, v136
	s_delay_alu instid0(VALU_DEP_4) | instskip(NEXT) | instid1(VALU_DEP_3)
	v_fmac_f32_e32 v163, 0x3ee1c552, v147
	v_fmac_f32_e32 v135, 0x3ee1c552, v160
	s_delay_alu instid0(VALU_DEP_3) | instskip(SKIP_1) | instid1(VALU_DEP_1)
	v_dual_add_f32 v165, v127, v161 :: v_dual_fmamk_f32 v162, v226, 0xbf955555, v133
	v_sub_f32_e32 v138, v211, v217
	v_mul_f32_e32 v138, 0x3f4a47b2, v138
	s_delay_alu instid0(VALU_DEP_1) | instskip(NEXT) | instid1(VALU_DEP_1)
	v_fmamk_f32 v127, v139, 0x3d64c772, v138
	v_dual_add_f32 v166, v127, v162 :: v_dual_add_f32 v127, v164, v165
	s_delay_alu instid0(VALU_DEP_1)
	v_sub_f32_e32 v128, v166, v163
	ds_store_2addr_b64 v238, v[132:133], v[127:128] offset1:45
	v_fma_f32 v133, 0x3f5ff5aa, v129, -v148
	v_mul_f32_e32 v129, 0x3f5ff5aa, v129
	v_dual_sub_f32 v127, v153, v152 :: v_dual_mul_f32 v132, 0x3d64c772, v137
	v_sub_f32_e32 v128, v216, v211
	s_delay_alu instid0(VALU_DEP_4) | instskip(NEXT) | instid1(VALU_DEP_4)
	v_fmac_f32_e32 v133, 0x3ee1c552, v147
	v_fma_f32 v134, 0xbeae86e6, v149, -v129
	v_mul_f32_e32 v129, 0x3f5ff5aa, v130
	v_fma_f32 v132, 0x3f3bfb3b, v127, -v132
	v_fma_f32 v127, 0xbf3bfb3b, v127, -v136
	s_delay_alu instid0(VALU_DEP_4) | instskip(NEXT) | instid1(VALU_DEP_4)
	v_fmac_f32_e32 v134, 0x3ee1c552, v147
	v_fma_f32 v136, 0xbeae86e6, v151, -v129
	s_delay_alu instid0(VALU_DEP_4) | instskip(NEXT) | instid1(VALU_DEP_4)
	v_dual_mul_f32 v129, 0x3d64c772, v139 :: v_dual_add_f32 v132, v132, v161
	v_add_f32_e32 v137, v127, v161
	s_delay_alu instid0(VALU_DEP_2) | instskip(SKIP_1) | instid1(VALU_DEP_2)
	v_fma_f32 v129, 0x3f3bfb3b, v128, -v129
	v_fma_f32 v128, 0xbf3bfb3b, v128, -v138
	v_add_f32_e32 v139, v129, v162
	s_delay_alu instid0(VALU_DEP_2) | instskip(SKIP_1) | instid1(VALU_DEP_3)
	v_add_f32_e32 v138, v128, v162
	v_dual_sub_f32 v129, v132, v135 :: v_dual_fmac_f32 v136, 0x3ee1c552, v160
	v_add_f32_e32 v130, v133, v139
	s_delay_alu instid0(VALU_DEP_2)
	v_dual_sub_f32 v128, v138, v134 :: v_dual_add_f32 v127, v136, v137
	ds_store_2addr_b64 v238, v[127:128], v[129:130] offset0:90 offset1:135
	v_add_f32_e32 v127, v135, v132
	v_dual_sub_f32 v129, v137, v136 :: v_dual_add_f32 v130, v134, v138
	v_sub_f32_e32 v137, v234, v233
	v_dual_sub_f32 v128, v139, v133 :: v_dual_sub_f32 v133, v229, v131
	v_sub_f32_e32 v131, v131, v230
	v_sub_f32_e32 v135, v233, v232
	;; [unrolled: 1-line block ×3, first 2 shown]
	ds_store_2addr_b64 v238, v[127:128], v[129:130] offset0:180 offset1:225
	v_dual_sub_f32 v127, v165, v164 :: v_dual_add_f32 v128, v163, v166
	v_dual_sub_f32 v129, v144, v146 :: v_dual_sub_f32 v130, v143, v141
	v_sub_f32_e32 v136, v232, v234
	v_sub_f32_e32 v140, v132, v126
	ds_store_b64 v238, v[127:128] offset:2160
	v_dual_sub_f32 v127, v155, v227 :: v_dual_add_f32 v138, v130, v129
	v_dual_sub_f32 v128, v228, v154 :: v_dual_sub_f32 v139, v130, v129
	s_delay_alu instid0(VALU_DEP_2) | instskip(NEXT) | instid1(VALU_DEP_3)
	v_dual_sub_f32 v130, v127, v130 :: v_dual_sub_f32 v129, v129, v127
	v_add_f32_e32 v138, v138, v127
	v_dual_sub_f32 v134, v230, v229 :: v_dual_add_f32 v127, v132, v126
	s_delay_alu instid0(VALU_DEP_4) | instskip(NEXT) | instid1(VALU_DEP_2)
	v_dual_sub_f32 v141, v126, v128 :: v_dual_mul_f32 v126, 0x3f4a47b2, v131
	v_dual_add_f32 v142, v127, v128 :: v_dual_mul_f32 v127, 0x3d64c772, v134
	s_delay_alu instid0(VALU_DEP_1) | instskip(SKIP_1) | instid1(VALU_DEP_4)
	v_fma_f32 v144, 0x3f3bfb3b, v133, -v127
	v_mul_f32_e32 v127, 0x3d64c772, v137
	v_fma_f32 v133, 0xbf3bfb3b, v133, -v126
	s_delay_alu instid0(VALU_DEP_2) | instskip(SKIP_1) | instid1(VALU_DEP_1)
	v_fma_f32 v145, 0x3f3bfb3b, v135, -v127
	v_mul_f32_e32 v127, 0x3f5ff5aa, v129
	v_fma_f32 v127, 0xbeae86e6, v130, -v127
	s_delay_alu instid0(VALU_DEP_1) | instskip(SKIP_2) | instid1(VALU_DEP_1)
	v_fmac_f32_e32 v127, 0x3ee1c552, v138
	v_fmamk_f32 v143, v134, 0x3d64c772, v126
	v_mul_f32_e32 v126, 0x3f4a47b2, v136
	v_fmamk_f32 v137, v137, 0x3d64c772, v126
	v_fma_f32 v135, 0xbf3bfb3b, v135, -v126
	v_mul_f32_e32 v126, 0xbf08b237, v139
	v_fmamk_f32 v139, v235, 0xbf955555, v125
	s_delay_alu instid0(VALU_DEP_2) | instskip(SKIP_1) | instid1(VALU_DEP_3)
	v_fma_f32 v131, 0x3f5ff5aa, v129, -v126
	v_mul_f32_e32 v129, 0x3f5ff5aa, v141
	v_dual_add_f32 v135, v135, v139 :: v_dual_sub_f32 v132, v128, v132
	v_mul_f32_e32 v128, 0xbf08b237, v140
	v_fmamk_f32 v126, v130, 0x3eae86e6, v126
	v_fmac_f32_e32 v131, 0x3ee1c552, v138
	s_delay_alu instid0(VALU_DEP_4)
	v_add_f32_e32 v233, v127, v135
	v_fma_f32 v130, 0xbeae86e6, v132, -v129
	v_fma_f32 v134, 0x3f5ff5aa, v141, -v128
	v_fmamk_f32 v128, v132, 0x3eae86e6, v128
	v_fmamk_f32 v132, v231, 0xbf955555, v124
	v_fmac_f32_e32 v126, 0x3ee1c552, v138
	v_fmac_f32_e32 v130, 0x3ee1c552, v142
	;; [unrolled: 1-line block ×3, first 2 shown]
	s_delay_alu instid0(VALU_DEP_4)
	v_dual_fmac_f32 v128, 0x3ee1c552, v142 :: v_dual_add_f32 v129, v143, v132
	v_add_f32_e32 v136, v144, v132
	v_add_f32_e32 v132, v133, v132
	;; [unrolled: 1-line block ×4, first 2 shown]
	v_sub_f32_e32 v228, v129, v128
	v_add_f32_e32 v230, v134, v136
	s_delay_alu instid0(VALU_DEP_4) | instskip(NEXT) | instid1(VALU_DEP_4)
	v_dual_sub_f32 v232, v132, v130 :: v_dual_add_f32 v229, v126, v133
	v_sub_f32_e32 v231, v137, v131
	s_and_saveexec_b32 s1, s0
	s_cbranch_execz .LBB0_15
; %bb.14:
	v_dual_add_f32 v137, v131, v137 :: v_dual_sub_f32 v136, v136, v134
	scratch_load_b32 v131, off, off offset:248 ; 4-byte Folded Reload
	v_add_f32_e32 v130, v130, v132
	s_waitcnt vmcnt(0)
	v_lshlrev_b32_e32 v134, 3, v131
	v_sub_f32_e32 v131, v135, v127
	v_dual_sub_f32 v127, v133, v126 :: v_dual_add_f32 v126, v128, v129
	s_delay_alu instid0(VALU_DEP_3)
	v_add_nc_u32_e32 v129, 0x2800, v134
	v_add_nc_u32_e32 v128, 0x2400, v134
	ds_store_2addr_b64 v128, v[124:125], v[126:127] offset0:108 offset1:153
	ds_store_2addr_b64 v129, v[130:131], v[136:137] offset0:70 offset1:115
	;; [unrolled: 1-line block ×3, first 2 shown]
	ds_store_b64 v134, v[228:229] offset:12240
.LBB0_15:
	s_or_b32 exec_lo, exec_lo, s1
	v_lshlrev_b32_e32 v128, 5, v242
	v_lshlrev_b32_e32 v132, 5, v159
	s_waitcnt lgkmcnt(0)
	s_barrier
	buffer_gl0_inv
	s_clause 0x3
	global_load_b128 v[136:139], v128, s[2:3] offset:2496
	global_load_b128 v[124:127], v132, s[2:3] offset:2496
	;; [unrolled: 1-line block ×4, first 2 shown]
	v_add_nc_u32_e32 v172, 0x1000, v255
	v_add_nc_u32_e32 v173, 0x2400, v255
	;; [unrolled: 1-line block ×3, first 2 shown]
	ds_load_2addr_b64 v[144:147], v172 offset0:118 offset1:181
	ds_load_2addr_b64 v[152:155], v173 offset0:108 offset1:171
	v_lshlrev_b32_e32 v158, 5, v158
	v_add_nc_u32_e32 v177, 0x1c00, v255
	v_add_nc_u32_e32 v175, 0x1800, v255
	ds_load_2addr_b64 v[168:171], v175 offset0:114 offset1:177
	v_add_nc_u32_e32 v176, 0x400, v255
	s_waitcnt vmcnt(3) lgkmcnt(2)
	v_mul_f32_e32 v150, v145, v139
	s_waitcnt vmcnt(2)
	v_mul_f32_e32 v183, v146, v127
	global_load_b128 v[140:143], v158, s[2:3] offset:2496
	s_waitcnt vmcnt(2) lgkmcnt(1)
	v_mul_f32_e32 v160, v153, v131
	s_waitcnt vmcnt(1)
	v_mul_f32_e32 v161, v155, v135
	v_mul_f32_e32 v184, v154, v135
	;; [unrolled: 1-line block ×3, first 2 shown]
	v_fma_f32 v151, v144, v138, -v150
	v_fma_f32 v150, v152, v130, -v160
	;; [unrolled: 1-line block ×3, first 2 shown]
	v_fmac_f32_e32 v184, v155, v134
	v_fmac_f32_e32 v149, v153, v130
	ds_load_2addr_b64 v[152:155], v174 offset0:122 offset1:185
	v_mul_f32_e32 v159, v147, v127
	v_fmac_f32_e32 v183, v147, v126
	s_delay_alu instid0(VALU_DEP_2) | instskip(SKIP_4) | instid1(VALU_DEP_3)
	v_fma_f32 v185, v146, v126, -v159
	s_waitcnt lgkmcnt(0)
	v_mul_f32_e32 v187, v152, v125
	v_mul_f32_e32 v148, v144, v139
	;; [unrolled: 1-line block ×3, first 2 shown]
	v_fmac_f32_e32 v187, v153, v124
	s_delay_alu instid0(VALU_DEP_3) | instskip(NEXT) | instid1(VALU_DEP_3)
	v_fmac_f32_e32 v148, v145, v138
	v_fma_f32 v188, v152, v124, -v144
	global_load_b128 v[144:147], v158, s[2:3] offset:2512
	s_waitcnt vmcnt(1)
	v_dual_sub_f32 v247, v188, v186 :: v_dual_mul_f32 v152, v155, v141
	v_mul_f32_e32 v179, v154, v141
	s_delay_alu instid0(VALU_DEP_2) | instskip(NEXT) | instid1(VALU_DEP_2)
	v_fma_f32 v180, v154, v140, -v152
	v_fmac_f32_e32 v179, v155, v140
	ds_load_2addr_b64 v[152:155], v177 offset0:112 offset1:175
	s_waitcnt lgkmcnt(0)
	v_mul_f32_e32 v158, v153, v133
	v_mul_f32_e32 v189, v152, v133
	s_delay_alu instid0(VALU_DEP_2) | instskip(NEXT) | instid1(VALU_DEP_2)
	v_fma_f32 v190, v152, v132, -v158
	v_fmac_f32_e32 v189, v153, v132
	v_mul_f32_e32 v153, v171, v129
	ds_load_2addr_b64 v[164:167], v176 offset0:124 offset1:187
	ds_load_2addr_b64 v[158:161], v255 offset1:63
	s_waitcnt vmcnt(0)
	v_dual_sub_f32 v243, v185, v190 :: v_dual_mul_f32 v152, v155, v145
	v_mul_f32_e32 v182, v154, v145
	v_fma_f32 v153, v170, v128, -v153
	v_sub_f32_e32 v241, v183, v189
	s_delay_alu instid0(VALU_DEP_4) | instskip(NEXT) | instid1(VALU_DEP_3)
	v_fma_f32 v181, v154, v144, -v152
	v_dual_fmac_f32 v182, v155, v144 :: v_dual_sub_f32 v191, v153, v150
	v_sub_f32_e32 v178, v150, v153
	s_waitcnt lgkmcnt(1)
	v_mul_f32_e32 v155, v166, v137
	v_mul_f32_e32 v152, v167, v137
	s_delay_alu instid0(VALU_DEP_2) | instskip(NEXT) | instid1(VALU_DEP_2)
	v_fmac_f32_e32 v155, v167, v136
	v_fma_f32 v152, v166, v136, -v152
	v_mul_f32_e32 v154, v170, v129
	v_add_f32_e32 v167, v151, v153
	s_waitcnt lgkmcnt(0)
	s_delay_alu instid0(VALU_DEP_3) | instskip(NEXT) | instid1(VALU_DEP_3)
	v_dual_add_f32 v163, v159, v155 :: v_dual_add_f32 v162, v158, v152
	v_dual_fmac_f32 v154, v171, v128 :: v_dual_sub_f32 v209, v152, v150
	v_dual_sub_f32 v166, v152, v151 :: v_dual_sub_f32 v171, v151, v153
	s_delay_alu instid0(VALU_DEP_3) | instskip(SKIP_1) | instid1(VALU_DEP_4)
	v_dual_add_f32 v162, v162, v151 :: v_dual_add_f32 v163, v163, v148
	v_sub_f32_e32 v151, v151, v152
	v_dual_sub_f32 v211, v155, v149 :: v_dual_sub_f32 v192, v149, v154
	s_delay_alu instid0(VALU_DEP_3) | instskip(SKIP_1) | instid1(VALU_DEP_2)
	v_dual_add_f32 v162, v162, v153 :: v_dual_add_f32 v163, v163, v154
	v_add_f32_e32 v170, v152, v150
	v_dual_add_f32 v152, v162, v150 :: v_dual_add_f32 v153, v163, v149
	v_dual_add_f32 v150, v148, v154 :: v_dual_add_f32 v163, v155, v149
	v_dual_sub_f32 v162, v155, v148 :: v_dual_sub_f32 v149, v154, v149
	v_sub_f32_e32 v210, v148, v154
	v_sub_f32_e32 v148, v148, v155
	v_fma_f32 v154, -0.5, v167, v158
	v_fma_f32 v155, -0.5, v150, v159
	;; [unrolled: 1-line block ×4, first 2 shown]
	v_add_nc_u32_e32 v170, 0x1400, v255
	v_add_nc_u32_e32 v167, 0xc00, v255
	v_fmamk_f32 v163, v209, 0xbf737871, v155
	v_add_f32_e32 v227, v148, v149
	v_dual_add_f32 v217, v162, v192 :: v_dual_add_f32 v226, v151, v191
	v_fmamk_f32 v207, v210, 0xbf737871, v158
	v_dual_fmamk_f32 v162, v211, 0x3f737871, v154 :: v_dual_fmac_f32 v155, 0x3f737871, v209
	v_fmamk_f32 v208, v171, 0x3f737871, v159
	v_fmac_f32_e32 v158, 0x3f737871, v210
	v_fmac_f32_e32 v159, 0xbf737871, v171
	;; [unrolled: 1-line block ×3, first 2 shown]
	v_dual_add_f32 v216, v166, v178 :: v_dual_fmac_f32 v163, 0xbf167918, v171
	v_dual_fmac_f32 v162, 0x3f167918, v210 :: v_dual_fmac_f32 v207, 0x3f167918, v211
	v_fmac_f32_e32 v208, 0xbf167918, v209
	v_fmac_f32_e32 v158, 0xbf167918, v211
	v_fmac_f32_e32 v159, 0x3f167918, v209
	v_fmac_f32_e32 v154, 0xbf167918, v210
	v_fmac_f32_e32 v155, 0x3f167918, v171
	v_dual_fmac_f32 v162, 0x3e9e377a, v216 :: v_dual_fmac_f32 v163, 0x3e9e377a, v217
	v_dual_fmac_f32 v207, 0x3e9e377a, v226 :: v_dual_fmac_f32 v208, 0x3e9e377a, v227
	;; [unrolled: 1-line block ×3, first 2 shown]
	s_delay_alu instid0(VALU_DEP_4)
	v_dual_fmac_f32 v154, 0x3e9e377a, v216 :: v_dual_fmac_f32 v155, 0x3e9e377a, v217
	v_add_nc_u32_e32 v178, 0x2800, v255
	v_add_nc_u32_e32 v166, 0x2000, v255
	ds_load_2addr_b64 v[191:194], v255 offset0:126 offset1:189
	ds_load_2addr_b64 v[148:151], v170 offset0:116 offset1:179
	ds_load_2addr_b64 v[195:198], v178 offset0:106 offset1:169
	ds_load_2addr_b64 v[199:202], v167 offset0:120 offset1:183
	ds_load_2addr_b64 v[203:206], v166 offset0:110 offset1:173
	ds_store_b64 v255, v[162:163] offset:2520
	ds_store_b64 v255, v[207:208] offset:5040
	;; [unrolled: 1-line block ×4, first 2 shown]
	v_dual_add_f32 v154, v160, v188 :: v_dual_add_f32 v155, v161, v187
	ds_load_b64 v[207:208], v255 offset:12096
	v_dual_add_f32 v154, v154, v185 :: v_dual_add_f32 v155, v155, v183
	s_delay_alu instid0(VALU_DEP_1) | instskip(SKIP_3) | instid1(VALU_DEP_2)
	v_dual_add_f32 v154, v154, v190 :: v_dual_add_f32 v155, v155, v189
	s_waitcnt lgkmcnt(8)
	v_mul_f32_e32 v239, v148, v143
	s_waitcnt lgkmcnt(7)
	v_dual_mul_f32 v235, v195, v147 :: v_dual_add_f32 v154, v154, v186
	v_add_f32_e32 v155, v155, v184
	s_delay_alu instid0(VALU_DEP_3) | instskip(NEXT) | instid1(VALU_DEP_3)
	v_fmac_f32_e32 v239, v149, v142
	v_fmac_f32_e32 v235, v196, v146
	ds_store_2addr_b64 v255, v[152:153], v[154:155] offset1:63
	v_add_f32_e32 v152, v185, v190
	v_add_f32_e32 v153, v188, v186
	s_delay_alu instid0(VALU_DEP_2) | instskip(NEXT) | instid1(VALU_DEP_2)
	v_fma_f32 v209, -0.5, v152, v160
	v_fma_f32 v160, -0.5, v153, v160
	v_dual_sub_f32 v152, v185, v188 :: v_dual_sub_f32 v153, v190, v186
	s_delay_alu instid0(VALU_DEP_1) | instskip(SKIP_1) | instid1(VALU_DEP_1)
	v_add_f32_e32 v171, v152, v153
	v_dual_add_f32 v152, v183, v189 :: v_dual_sub_f32 v153, v189, v184
	v_fma_f32 v210, -0.5, v152, v161
	v_add_f32_e32 v152, v187, v184
	s_delay_alu instid0(VALU_DEP_1) | instskip(SKIP_1) | instid1(VALU_DEP_2)
	v_dual_fmac_f32 v161, -0.5, v152 :: v_dual_sub_f32 v152, v183, v187
	v_sub_f32_e32 v183, v187, v183
	v_dual_add_f32 v211, v152, v153 :: v_dual_mul_f32 v152, v149, v143
	v_sub_f32_e32 v149, v182, v235
	s_delay_alu instid0(VALU_DEP_2)
	v_fma_f32 v216, v148, v142, -v152
	v_mul_f32_e32 v152, v196, v147
	v_sub_f32_e32 v148, v239, v179
	v_fmamk_f32 v196, v243, 0x3f737871, v161
	v_fmac_f32_e32 v161, 0xbf737871, v243
	v_sub_f32_e32 v245, v216, v181
	v_fma_f32 v217, v195, v146, -v152
	v_dual_sub_f32 v152, v216, v180 :: v_dual_fmamk_f32 v195, v241, 0xbf737871, v160
	v_add_f32_e32 v240, v148, v149
	v_dual_sub_f32 v246, v187, v184 :: v_dual_fmac_f32 v161, 0x3f167918, v247
	s_delay_alu instid0(VALU_DEP_4) | instskip(SKIP_3) | instid1(VALU_DEP_4)
	v_sub_f32_e32 v153, v181, v217
	v_sub_f32_e32 v249, v180, v217
	v_lshlrev_b32_e32 v148, 5, v157
	v_sub_f32_e32 v184, v184, v189
	v_add_f32_e32 v234, v152, v153
	v_dual_add_f32 v152, v180, v217 :: v_dual_add_f32 v153, v179, v235
	s_delay_alu instid0(VALU_DEP_1) | instskip(NEXT) | instid1(VALU_DEP_2)
	v_fma_f32 v152, -0.5, v152, v191
	v_fma_f32 v153, -0.5, v153, v192
	v_sub_f32_e32 v244, v239, v182
	s_delay_alu instid0(VALU_DEP_2) | instskip(NEXT) | instid1(VALU_DEP_2)
	v_dual_fmac_f32 v160, 0x3f737871, v241 :: v_dual_fmamk_f32 v227, v245, 0x3f737871, v153
	v_dual_fmac_f32 v153, 0xbf737871, v245 :: v_dual_fmamk_f32 v226, v244, 0xbf737871, v152
	v_fmac_f32_e32 v152, 0x3f737871, v244
	s_delay_alu instid0(VALU_DEP_3) | instskip(NEXT) | instid1(VALU_DEP_3)
	v_fmac_f32_e32 v160, 0xbf167918, v246
	v_dual_sub_f32 v248, v179, v235 :: v_dual_fmac_f32 v153, 0x3f167918, v249
	v_dual_fmac_f32 v196, 0xbf167918, v247 :: v_dual_fmac_f32 v227, 0xbf167918, v249
	s_delay_alu instid0(VALU_DEP_3) | instskip(NEXT) | instid1(VALU_DEP_3)
	v_fmac_f32_e32 v160, 0x3e9e377a, v171
	v_fmac_f32_e32 v152, 0xbf167918, v248
	;; [unrolled: 1-line block ×3, first 2 shown]
	s_delay_alu instid0(VALU_DEP_4) | instskip(NEXT) | instid1(VALU_DEP_3)
	v_dual_fmac_f32 v153, 0x3e9e377a, v240 :: v_dual_fmac_f32 v196, 0x3e9e377a, v211
	v_fmac_f32_e32 v152, 0x3e9e377a, v234
	ds_store_2addr_b64 v177, v[160:161], v[152:153] offset0:112 offset1:175
	s_clause 0x1
	global_load_b128 v[160:163], v148, s[2:3] offset:2496
	global_load_b128 v[152:155], v148, s[2:3] offset:2512
	s_waitcnt vmcnt(1)
	v_mul_f32_e32 v148, v151, v163
	v_mul_f32_e32 v251, v150, v163
	s_waitcnt lgkmcnt(8)
	v_dual_mul_f32 v149, v200, v161 :: v_dual_fmac_f32 v226, 0x3f167918, v248
	s_delay_alu instid0(VALU_DEP_3) | instskip(SKIP_2) | instid1(VALU_DEP_3)
	v_fma_f32 v250, v150, v162, -v148
	s_waitcnt vmcnt(0)
	v_dual_mul_f32 v148, v198, v155 :: v_dual_fmac_f32 v251, v151, v162
	v_fmac_f32_e32 v226, 0x3e9e377a, v234
	s_delay_alu instid0(VALU_DEP_2) | instskip(SKIP_1) | instid1(VALU_DEP_1)
	v_fma_f32 v252, v197, v154, -v148
	v_dual_mul_f32 v197, v197, v155 :: v_dual_lshlrev_b32 v148, 5, v156
	v_fmac_f32_e32 v197, v198, v154
	v_fma_f32 v198, v199, v160, -v149
	v_mul_f32_e32 v199, v199, v161
	s_clause 0x1
	global_load_b128 v[156:159], v148, s[2:3] offset:2496
	global_load_b128 v[148:151], v148, s[2:3] offset:2512
	s_waitcnt vmcnt(1)
	v_dual_fmac_f32 v199, v200, v160 :: v_dual_mul_f32 v200, v202, v157
	v_mul_f32_e32 v253, v168, v159
	s_delay_alu instid0(VALU_DEP_2) | instskip(SKIP_1) | instid1(VALU_DEP_1)
	v_fma_f32 v200, v201, v156, -v200
	v_mul_f32_e32 v201, v201, v157
	v_dual_fmac_f32 v201, v202, v156 :: v_dual_mul_f32 v202, v169, v159
	s_delay_alu instid0(VALU_DEP_1) | instskip(SKIP_2) | instid1(VALU_DEP_1)
	v_fma_f32 v202, v168, v158, -v202
	s_waitcnt lgkmcnt(7)
	v_mul_f32_e32 v168, v204, v153
	v_fma_f32 v254, v203, v152, -v168
	v_mul_f32_e32 v203, v203, v153
	s_waitcnt vmcnt(0)
	v_dual_mul_f32 v168, v206, v149 :: v_dual_fmac_f32 v253, v169, v158
	v_sub_f32_e32 v169, v186, v190
	s_delay_alu instid0(VALU_DEP_3) | instskip(NEXT) | instid1(VALU_DEP_3)
	v_fmac_f32_e32 v203, v204, v152
	v_fma_f32 v204, v205, v148, -v168
	v_sub_f32_e32 v168, v188, v185
	v_add_f32_e32 v188, v183, v184
	v_sub_f32_e32 v184, v235, v182
	v_sub_f32_e32 v183, v179, v239
	v_mul_f32_e32 v205, v205, v149
	v_add_f32_e32 v187, v168, v169
	v_sub_f32_e32 v168, v180, v216
	s_delay_alu instid0(VALU_DEP_4) | instskip(SKIP_3) | instid1(VALU_DEP_3)
	v_add_f32_e32 v190, v183, v184
	v_dual_fmamk_f32 v184, v247, 0xbf737871, v210 :: v_dual_sub_f32 v169, v217, v181
	v_dual_fmamk_f32 v183, v246, 0x3f737871, v209 :: v_dual_fmac_f32 v210, 0x3f737871, v247
	v_fmac_f32_e32 v195, 0x3f167918, v246
	v_dual_fmac_f32 v184, 0xbf167918, v243 :: v_dual_add_f32 v189, v168, v169
	v_dual_add_f32 v168, v216, v181 :: v_dual_add_f32 v169, v239, v182
	s_delay_alu instid0(VALU_DEP_4) | instskip(NEXT) | instid1(VALU_DEP_3)
	v_dual_fmac_f32 v210, 0x3f167918, v243 :: v_dual_fmac_f32 v183, 0x3f167918, v241
	v_fmac_f32_e32 v184, 0x3e9e377a, v188
	s_delay_alu instid0(VALU_DEP_3) | instskip(NEXT) | instid1(VALU_DEP_4)
	v_fma_f32 v168, -0.5, v168, v191
	v_fma_f32 v169, -0.5, v169, v192
	v_fmac_f32_e32 v209, 0xbf737871, v246
	v_dual_fmac_f32 v210, 0x3e9e377a, v188 :: v_dual_fmac_f32 v195, 0x3e9e377a, v171
	s_delay_alu instid0(VALU_DEP_4) | instskip(NEXT) | instid1(VALU_DEP_4)
	v_fmamk_f32 v185, v248, 0x3f737871, v168
	v_fmamk_f32 v186, v249, 0xbf737871, v169
	v_fmac_f32_e32 v168, 0xbf737871, v248
	v_fmac_f32_e32 v169, 0x3f737871, v249
	;; [unrolled: 1-line block ×3, first 2 shown]
	s_delay_alu instid0(VALU_DEP_4) | instskip(NEXT) | instid1(VALU_DEP_4)
	v_dual_add_f32 v171, v193, v198 :: v_dual_fmac_f32 v186, 0xbf167918, v245
	v_fmac_f32_e32 v168, 0xbf167918, v244
	s_delay_alu instid0(VALU_DEP_4) | instskip(SKIP_3) | instid1(VALU_DEP_4)
	v_fmac_f32_e32 v169, 0x3f167918, v245
	v_fmac_f32_e32 v227, 0x3e9e377a, v240
	;; [unrolled: 1-line block ×3, first 2 shown]
	v_dual_fmac_f32 v183, 0x3e9e377a, v187 :: v_dual_fmac_f32 v186, 0x3e9e377a, v190
	v_dual_fmac_f32 v168, 0x3e9e377a, v189 :: v_dual_fmac_f32 v169, 0x3e9e377a, v190
	v_add_f32_e32 v190, v199, v197
	ds_store_2addr_b64 v172, v[195:196], v[226:227] offset0:181 offset1:244
	v_sub_f32_e32 v187, v251, v199
	v_fmac_f32_e32 v205, v206, v148
	ds_store_2addr_b64 v178, v[209:210], v[168:169] offset0:43 offset1:106
	v_dual_add_f32 v168, v191, v180 :: v_dual_add_f32 v169, v192, v179
	v_dual_add_f32 v179, v194, v199 :: v_dual_sub_f32 v192, v203, v197
	v_sub_f32_e32 v188, v251, v203
	s_delay_alu instid0(VALU_DEP_3) | instskip(SKIP_1) | instid1(VALU_DEP_2)
	v_add_f32_e32 v168, v168, v216
	v_fmac_f32_e32 v185, 0x3f167918, v244
	v_dual_add_f32 v179, v179, v251 :: v_dual_add_f32 v168, v168, v181
	s_delay_alu instid0(VALU_DEP_1) | instskip(NEXT) | instid1(VALU_DEP_2)
	v_dual_fmac_f32 v185, 0x3e9e377a, v189 :: v_dual_add_f32 v180, v179, v203
	v_dual_add_f32 v169, v169, v239 :: v_dual_add_f32 v168, v168, v217
	ds_store_2addr_b64 v174, v[183:184], v[185:186] offset0:122 offset1:185
	v_dual_add_f32 v180, v180, v197 :: v_dual_sub_f32 v183, v198, v252
	v_add_f32_e32 v169, v169, v182
	v_dual_sub_f32 v182, v252, v254 :: v_dual_sub_f32 v181, v254, v252
	v_add_f32_e32 v171, v171, v250
	v_sub_f32_e32 v191, v199, v197
	s_delay_alu instid0(VALU_DEP_4) | instskip(SKIP_1) | instid1(VALU_DEP_4)
	v_dual_add_f32 v169, v169, v235 :: v_dual_sub_f32 v186, v250, v254
	v_add_f32_e32 v184, v251, v203
	v_add_f32_e32 v171, v171, v254
	s_delay_alu instid0(VALU_DEP_1)
	v_add_f32_e32 v179, v171, v252
	ds_store_2addr_b64 v255, v[168:169], v[179:180] offset0:126 offset1:189
	s_waitcnt lgkmcnt(6)
	v_dual_mul_f32 v168, v208, v151 :: v_dual_sub_f32 v169, v250, v198
	v_add_f32_e32 v180, v198, v252
	v_sub_f32_e32 v179, v198, v250
	s_delay_alu instid0(VALU_DEP_3) | instskip(SKIP_4) | instid1(VALU_DEP_4)
	v_fma_f32 v171, v207, v150, -v168
	v_add_f32_e32 v168, v250, v254
	v_add_f32_e32 v196, v169, v181
	v_fma_f32 v169, -0.5, v184, v194
	v_dual_fmac_f32 v194, -0.5, v190 :: v_dual_mul_f32 v185, v207, v151
	v_fma_f32 v168, -0.5, v168, v193
	v_fma_f32 v193, -0.5, v180, v193
	v_add_f32_e32 v184, v165, v201
	s_delay_alu instid0(VALU_DEP_4) | instskip(SKIP_2) | instid1(VALU_DEP_4)
	v_fmamk_f32 v180, v186, 0x3f737871, v194
	v_fmac_f32_e32 v194, 0xbf737871, v186
	v_fmac_f32_e32 v185, v208, v150
	v_dual_sub_f32 v189, v199, v251 :: v_dual_add_f32 v184, v184, v253
	v_sub_f32_e32 v195, v197, v203
	v_dual_add_f32 v187, v187, v192 :: v_dual_fmac_f32 v180, 0xbf167918, v183
	v_add_f32_e32 v190, v179, v182
	v_fmamk_f32 v182, v183, 0xbf737871, v169
	v_fmac_f32_e32 v169, 0x3f737871, v183
	v_dual_fmac_f32 v194, 0x3f167918, v183 :: v_dual_add_f32 v183, v164, v200
	v_dual_add_f32 v189, v189, v195 :: v_dual_add_f32 v184, v184, v205
	v_fmamk_f32 v179, v188, 0xbf737871, v193
	v_fmac_f32_e32 v193, 0x3f737871, v188
	v_fmamk_f32 v181, v191, 0x3f737871, v168
	v_fmac_f32_e32 v168, 0xbf737871, v191
	v_dual_fmac_f32 v194, 0x3e9e377a, v187 :: v_dual_add_f32 v183, v183, v202
	v_fmac_f32_e32 v180, 0x3e9e377a, v187
	v_dual_add_f32 v184, v184, v185 :: v_dual_fmac_f32 v193, 0xbf167918, v191
	s_delay_alu instid0(VALU_DEP_4) | instskip(NEXT) | instid1(VALU_DEP_4)
	v_fmac_f32_e32 v168, 0xbf167918, v188
	v_add_f32_e32 v183, v183, v204
	v_fmac_f32_e32 v169, 0x3f167918, v186
	v_fmac_f32_e32 v179, 0x3f167918, v191
	;; [unrolled: 1-line block ×3, first 2 shown]
	v_dual_fmac_f32 v193, 0x3e9e377a, v196 :: v_dual_fmac_f32 v168, 0x3e9e377a, v190
	v_add_f32_e32 v183, v183, v171
	v_dual_fmac_f32 v169, 0x3e9e377a, v189 :: v_dual_sub_f32 v186, v200, v171
	s_delay_alu instid0(VALU_DEP_4)
	v_dual_fmac_f32 v179, 0x3e9e377a, v196 :: v_dual_fmac_f32 v182, 0x3e9e377a, v189
	ds_store_b64 v255, v[193:194] offset:9072
	ds_store_b64 v255, v[168:169] offset:11592
	;; [unrolled: 1-line block ×4, first 2 shown]
	v_sub_f32_e32 v168, v200, v202
	v_dual_sub_f32 v184, v253, v205 :: v_dual_sub_f32 v169, v171, v204
	v_sub_f32_e32 v183, v201, v185
	v_sub_f32_e32 v187, v202, v204
	v_fmac_f32_e32 v181, 0x3f167918, v188
	s_delay_alu instid0(VALU_DEP_4) | instskip(SKIP_1) | instid1(VALU_DEP_2)
	v_dual_add_f32 v179, v168, v169 :: v_dual_add_f32 v168, v202, v204
	v_add_f32_e32 v169, v253, v205
	v_fma_f32 v234, -0.5, v168, v164
	s_delay_alu instid0(VALU_DEP_2) | instskip(SKIP_2) | instid1(VALU_DEP_1)
	v_fma_f32 v235, -0.5, v169, v165
	v_sub_f32_e32 v168, v201, v253
	v_sub_f32_e32 v169, v185, v205
	v_add_f32_e32 v180, v168, v169
	v_fmamk_f32 v168, v183, 0x3f737871, v234
	v_fmamk_f32 v169, v186, 0xbf737871, v235
	v_fmac_f32_e32 v235, 0x3f737871, v186
	s_delay_alu instid0(VALU_DEP_3) | instskip(NEXT) | instid1(VALU_DEP_3)
	v_fmac_f32_e32 v168, 0x3f167918, v184
	v_fmac_f32_e32 v169, 0xbf167918, v187
	s_delay_alu instid0(VALU_DEP_2) | instskip(NEXT) | instid1(VALU_DEP_2)
	v_dual_fmac_f32 v181, 0x3e9e377a, v190 :: v_dual_fmac_f32 v168, 0x3e9e377a, v179
	v_fmac_f32_e32 v169, 0x3e9e377a, v180
	ds_store_2addr_b64 v167, v[181:182], v[168:169] offset0:120 offset1:183
	v_dual_add_f32 v169, v200, v171 :: v_dual_sub_f32 v168, v202, v200
	v_dual_sub_f32 v171, v204, v171 :: v_dual_add_f32 v182, v201, v185
	s_delay_alu instid0(VALU_DEP_2) | instskip(NEXT) | instid1(VALU_DEP_2)
	v_fma_f32 v164, -0.5, v169, v164
	v_add_f32_e32 v171, v168, v171
	s_delay_alu instid0(VALU_DEP_2) | instskip(SKIP_1) | instid1(VALU_DEP_1)
	v_dual_fmac_f32 v165, -0.5, v182 :: v_dual_fmamk_f32 v168, v184, 0xbf737871, v164
	v_fmac_f32_e32 v164, 0x3f737871, v184
	v_fmac_f32_e32 v164, 0xbf167918, v183
	s_delay_alu instid0(VALU_DEP_3) | instskip(SKIP_2) | instid1(VALU_DEP_4)
	v_fmamk_f32 v169, v187, 0x3f737871, v165
	v_fmac_f32_e32 v165, 0xbf737871, v187
	v_fmac_f32_e32 v235, 0x3f167918, v187
	;; [unrolled: 1-line block ×3, first 2 shown]
	v_dual_fmac_f32 v234, 0xbf737871, v183 :: v_dual_sub_f32 v181, v253, v201
	s_delay_alu instid0(VALU_DEP_4) | instskip(NEXT) | instid1(VALU_DEP_2)
	v_dual_fmac_f32 v168, 0x3f167918, v183 :: v_dual_fmac_f32 v165, 0x3f167918, v186
	v_dual_fmac_f32 v169, 0xbf167918, v186 :: v_dual_fmac_f32 v234, 0xbf167918, v184
	s_delay_alu instid0(VALU_DEP_2) | instskip(NEXT) | instid1(VALU_DEP_2)
	v_dual_sub_f32 v185, v205, v185 :: v_dual_fmac_f32 v168, 0x3e9e377a, v171
	v_dual_fmac_f32 v235, 0x3e9e377a, v180 :: v_dual_fmac_f32 v234, 0x3e9e377a, v179
	s_delay_alu instid0(VALU_DEP_2) | instskip(NEXT) | instid1(VALU_DEP_1)
	v_add_f32_e32 v181, v181, v185
	v_fmac_f32_e32 v165, 0x3e9e377a, v181
	v_fmac_f32_e32 v169, 0x3e9e377a, v181
	ds_store_b64 v255, v[164:165] offset:9576
	ds_store_b64 v255, v[168:169] offset:7056
	v_add_co_u32 v164, s1, 0x3000, v212
	s_delay_alu instid0(VALU_DEP_1) | instskip(SKIP_1) | instid1(VALU_DEP_1)
	v_add_co_ci_u32_e64 v165, s1, 0, v213, s1
	v_add_co_u32 v168, s1, 0x5000, v212
	v_add_co_ci_u32_e64 v169, s1, 0, v213, s1
	ds_store_b64 v255, v[234:235] offset:12096
	s_waitcnt lgkmcnt(0)
	s_barrier
	buffer_gl0_inv
	scratch_store_b64 off, v[164:165], off offset:264 ; 8-byte Folded Spill
	s_clause 0x1
	global_load_b64 v[164:165], v[164:165], off offset:312
	global_load_b64 v[183:184], v[168:169], off offset:4048
	ds_load_2addr_b64 v[179:182], v255 offset1:63
	s_waitcnt vmcnt(1) lgkmcnt(0)
	v_mul_f32_e32 v171, v180, v165
	v_mul_f32_e32 v186, v179, v165
	s_delay_alu instid0(VALU_DEP_2) | instskip(NEXT) | instid1(VALU_DEP_2)
	v_fma_f32 v185, v179, v164, -v171
	v_fmac_f32_e32 v186, v180, v164
	v_add_co_u32 v164, s1, 0x3138, v212
	s_delay_alu instid0(VALU_DEP_1)
	v_add_co_ci_u32_e64 v165, s1, 0, v213, s1
	s_clause 0x3
	global_load_b64 v[179:180], v[164:165], off offset:504
	global_load_b64 v[187:188], v[164:165], off offset:1008
	;; [unrolled: 1-line block ×4, first 2 shown]
	ds_store_b64 v255, v[185:186]
	v_add_co_u32 v185, s1, 0x4000, v212
	s_delay_alu instid0(VALU_DEP_1)
	v_add_co_ci_u32_e64 v186, s1, 0, v213, s1
	s_clause 0x1
	global_load_b64 v[195:196], v[185:186], off offset:416
	global_load_b64 v[197:198], v[164:165], off offset:3528
	s_waitcnt vmcnt(5)
	v_mul_f32_e32 v171, v182, v180
	v_mul_f32_e32 v194, v181, v180
	s_delay_alu instid0(VALU_DEP_2) | instskip(NEXT) | instid1(VALU_DEP_2)
	v_fma_f32 v193, v181, v179, -v171
	v_fmac_f32_e32 v194, v182, v179
	ds_load_2addr_b64 v[179:182], v172 offset0:13 offset1:76
	s_waitcnt vmcnt(1) lgkmcnt(0)
	v_mul_f32_e32 v171, v180, v196
	v_mul_f32_e32 v200, v179, v196
	s_delay_alu instid0(VALU_DEP_2) | instskip(NEXT) | instid1(VALU_DEP_2)
	v_fma_f32 v199, v179, v195, -v171
	v_fmac_f32_e32 v200, v180, v195
	s_clause 0x5
	global_load_b64 v[179:180], v[185:186], off offset:920
	global_load_b64 v[195:196], v[185:186], off offset:1424
	global_load_b64 v[201:202], v[185:186], off offset:1928
	global_load_b64 v[203:204], v[185:186], off offset:2432
	global_load_b64 v[207:208], v[168:169], off offset:520
	global_load_b64 v[209:210], v[185:186], off offset:3944
	s_waitcnt vmcnt(5)
	v_mul_f32_e32 v171, v182, v180
	v_mul_f32_e32 v206, v181, v180
	s_delay_alu instid0(VALU_DEP_2) | instskip(NEXT) | instid1(VALU_DEP_2)
	v_fma_f32 v205, v181, v179, -v171
	v_fmac_f32_e32 v206, v182, v179
	ds_load_2addr_b64 v[179:182], v166 offset0:26 offset1:89
	s_waitcnt vmcnt(1) lgkmcnt(0)
	v_mul_f32_e32 v171, v180, v208
	v_mul_f32_e32 v240, v179, v208
	s_delay_alu instid0(VALU_DEP_2) | instskip(NEXT) | instid1(VALU_DEP_2)
	v_fma_f32 v239, v179, v207, -v171
	v_fmac_f32_e32 v240, v180, v207
	s_clause 0x3
	global_load_b64 v[179:180], v[168:169], off offset:1024
	global_load_b64 v[207:208], v[168:169], off offset:1528
	;; [unrolled: 1-line block ×4, first 2 shown]
	s_waitcnt vmcnt(3)
	v_mul_f32_e32 v171, v182, v180
	v_mul_f32_e32 v227, v181, v180
	s_delay_alu instid0(VALU_DEP_2) | instskip(NEXT) | instid1(VALU_DEP_2)
	v_fma_f32 v226, v181, v179, -v171
	v_fmac_f32_e32 v227, v182, v179
	ds_load_2addr_b64 v[179:182], v255 offset0:126 offset1:189
	s_waitcnt lgkmcnt(0)
	v_mul_f32_e32 v171, v180, v188
	v_mul_f32_e32 v248, v179, v188
	;; [unrolled: 1-line block ×3, first 2 shown]
	s_delay_alu instid0(VALU_DEP_3) | instskip(NEXT) | instid1(VALU_DEP_3)
	v_fma_f32 v247, v179, v187, -v171
	v_dual_mul_f32 v171, v182, v190 :: v_dual_fmac_f32 v248, v180, v187
	s_delay_alu instid0(VALU_DEP_3) | instskip(NEXT) | instid1(VALU_DEP_2)
	v_fmac_f32_e32 v188, v182, v189
	v_fma_f32 v187, v181, v189, -v171
	ds_load_2addr_b64 v[179:182], v172 offset0:139 offset1:202
	s_waitcnt lgkmcnt(0)
	v_mul_f32_e32 v171, v180, v196
	v_mul_f32_e32 v190, v179, v196
	;; [unrolled: 1-line block ×3, first 2 shown]
	s_delay_alu instid0(VALU_DEP_3) | instskip(NEXT) | instid1(VALU_DEP_3)
	v_fma_f32 v189, v179, v195, -v171
	v_dual_mul_f32 v171, v182, v202 :: v_dual_fmac_f32 v190, v180, v195
	s_delay_alu instid0(VALU_DEP_3) | instskip(NEXT) | instid1(VALU_DEP_2)
	v_fmac_f32_e32 v196, v182, v201
	v_fma_f32 v195, v181, v201, -v171
	ds_load_2addr_b64 v[179:182], v166 offset0:152 offset1:215
	s_waitcnt vmcnt(2) lgkmcnt(0)
	v_mul_f32_e32 v171, v180, v208
	v_mul_f32_e32 v202, v179, v208
	s_waitcnt vmcnt(1)
	v_mul_f32_e32 v208, v181, v244
	s_delay_alu instid0(VALU_DEP_3) | instskip(NEXT) | instid1(VALU_DEP_3)
	v_fma_f32 v201, v179, v207, -v171
	v_dual_mul_f32 v171, v182, v244 :: v_dual_fmac_f32 v202, v180, v207
	s_delay_alu instid0(VALU_DEP_3) | instskip(NEXT) | instid1(VALU_DEP_2)
	v_fmac_f32_e32 v208, v182, v243
	v_fma_f32 v207, v181, v243, -v171
	ds_load_2addr_b64 v[179:182], v176 offset0:124 offset1:187
	s_waitcnt lgkmcnt(0)
	v_mul_f32_e32 v171, v180, v192
	v_mul_f32_e32 v244, v179, v192
	s_delay_alu instid0(VALU_DEP_2) | instskip(NEXT) | instid1(VALU_DEP_2)
	v_fma_f32 v243, v179, v191, -v171
	v_fmac_f32_e32 v244, v180, v191
	s_clause 0x1
	global_load_b64 v[179:180], v[164:165], off offset:2520
	global_load_b64 v[191:192], v[164:165], off offset:3024
	s_waitcnt vmcnt(1)
	v_mul_f32_e32 v171, v182, v180
	v_mul_f32_e32 v250, v181, v180
	s_delay_alu instid0(VALU_DEP_2) | instskip(NEXT) | instid1(VALU_DEP_2)
	v_fma_f32 v249, v181, v179, -v171
	v_fmac_f32_e32 v250, v182, v179
	ds_load_2addr_b64 v[179:182], v175 offset0:9 offset1:72
	s_waitcnt lgkmcnt(0)
	v_mul_f32_e32 v171, v180, v204
	v_mul_f32_e32 v252, v179, v204
	s_delay_alu instid0(VALU_DEP_2) | instskip(NEXT) | instid1(VALU_DEP_2)
	v_fma_f32 v251, v179, v203, -v171
	v_fmac_f32_e32 v252, v180, v203
	s_clause 0x1
	global_load_b64 v[179:180], v[185:186], off offset:2936
	global_load_b64 v[185:186], v[185:186], off offset:3440
	s_waitcnt vmcnt(1)
	v_mul_f32_e32 v171, v182, v180
	v_mul_f32_e32 v204, v181, v180
	s_delay_alu instid0(VALU_DEP_2) | instskip(NEXT) | instid1(VALU_DEP_2)
	v_fma_f32 v203, v181, v179, -v171
	v_fmac_f32_e32 v204, v182, v179
	;; [unrolled: 16-line block ×3, first 2 shown]
	ds_load_2addr_b64 v[179:182], v174 offset0:122 offset1:185
	s_waitcnt lgkmcnt(0)
	v_mul_f32_e32 v171, v180, v192
	v_dual_mul_f32 v217, v179, v192 :: v_dual_mul_f32 v192, v181, v198
	s_delay_alu instid0(VALU_DEP_1) | instskip(NEXT) | instid1(VALU_DEP_3)
	v_dual_fmac_f32 v217, v180, v191 :: v_dual_fmac_f32 v192, v182, v197
	v_fma_f32 v216, v179, v191, -v171
	v_mul_f32_e32 v171, v182, v198
	s_delay_alu instid0(VALU_DEP_1)
	v_fma_f32 v191, v181, v197, -v171
	ds_load_2addr_b64 v[179:182], v175 offset0:135 offset1:198
	s_waitcnt lgkmcnt(0)
	v_mul_f32_e32 v171, v180, v186
	v_mul_f32_e32 v198, v179, v186
	;; [unrolled: 1-line block ×3, first 2 shown]
	s_delay_alu instid0(VALU_DEP_3) | instskip(NEXT) | instid1(VALU_DEP_3)
	v_fma_f32 v197, v179, v185, -v171
	v_dual_mul_f32 v171, v182, v210 :: v_dual_fmac_f32 v198, v180, v185
	s_delay_alu instid0(VALU_DEP_3) | instskip(NEXT) | instid1(VALU_DEP_2)
	v_fmac_f32_e32 v186, v182, v209
	v_fma_f32 v185, v181, v209, -v171
	ds_load_2addr_b64 v[179:182], v178 offset0:148 offset1:211
	s_waitcnt vmcnt(0) lgkmcnt(0)
	v_mul_f32_e32 v171, v180, v169
	v_dual_mul_f32 v210, v179, v169 :: v_dual_mul_f32 v169, v181, v184
	s_delay_alu instid0(VALU_DEP_2) | instskip(NEXT) | instid1(VALU_DEP_2)
	v_fma_f32 v209, v179, v168, -v171
	v_dual_fmac_f32 v210, v180, v168 :: v_dual_fmac_f32 v169, v182, v183
	v_mul_f32_e32 v168, v182, v184
	s_delay_alu instid0(VALU_DEP_1)
	v_fma_f32 v168, v181, v183, -v168
	ds_store_2addr_b64 v170, v[195:196], v[251:252] offset0:74 offset1:137
	ds_store_2addr_b64 v173, v[207:208], v[253:254] offset0:87 offset1:150
	;; [unrolled: 1-line block ×11, first 2 shown]
	ds_store_b64 v255, v[168:169] offset:11928
	s_and_saveexec_b32 s2, vcc_lo
	s_cbranch_execz .LBB0_17
; %bb.16:
	v_add_co_u32 v169, s1, 0x2000, v164
	s_delay_alu instid0(VALU_DEP_1) | instskip(SKIP_2) | instid1(VALU_DEP_1)
	v_add_co_ci_u32_e64 v170, s1, 0, v165, s1
	global_load_b64 v[167:168], v[164:165], off offset:4032
	v_add_co_u32 v164, s1, 0x3000, v164
	v_add_co_ci_u32_e64 v165, s1, 0, v165, s1
	s_clause 0x1
	global_load_b64 v[169:170], v[169:170], off offset:40
	global_load_b64 v[164:165], v[164:165], off offset:144
	ds_load_b64 v[179:180], v255 offset:4032
	ds_load_b64 v[181:182], v255 offset:8232
	;; [unrolled: 1-line block ×3, first 2 shown]
	s_waitcnt vmcnt(2) lgkmcnt(2)
	v_mul_f32_e32 v171, v180, v168
	v_mul_f32_e32 v186, v179, v168
	s_waitcnt vmcnt(1) lgkmcnt(1)
	v_mul_f32_e32 v168, v181, v170
	s_delay_alu instid0(VALU_DEP_3)
	v_fma_f32 v185, v179, v167, -v171
	v_mul_f32_e32 v171, v182, v170
	s_waitcnt vmcnt(0) lgkmcnt(0)
	v_mul_f32_e32 v173, v184, v165
	v_mul_f32_e32 v170, v183, v165
	v_fmac_f32_e32 v186, v180, v167
	v_fmac_f32_e32 v168, v182, v169
	v_fma_f32 v167, v181, v169, -v171
	v_fma_f32 v169, v183, v164, -v173
	v_fmac_f32_e32 v170, v184, v164
	ds_store_b64 v255, v[185:186] offset:4032
	ds_store_b64 v255, v[167:168] offset:8232
	;; [unrolled: 1-line block ×3, first 2 shown]
.LBB0_17:
	s_or_b32 exec_lo, exec_lo, s2
	s_waitcnt lgkmcnt(0)
	s_waitcnt_vscnt null, 0x0
	s_barrier
	buffer_gl0_inv
	ds_load_2addr_b64 v[208:211], v172 offset0:13 offset1:76
	ds_load_2addr_b64 v[204:207], v166 offset0:26 offset1:89
	;; [unrolled: 1-line block ×10, first 2 shown]
	ds_load_2addr_b64 v[176:179], v255 offset1:63
	ds_load_2addr_b64 v[172:175], v255 offset0:126 offset1:189
	s_and_saveexec_b32 s1, vcc_lo
	s_cbranch_execz .LBB0_19
; %bb.18:
	ds_load_b64 v[234:235], v255 offset:4032
	ds_load_b64 v[230:231], v255 offset:8232
	;; [unrolled: 1-line block ×3, first 2 shown]
.LBB0_19:
	s_or_b32 exec_lo, exec_lo, s1
	s_waitcnt lgkmcnt(1)
	v_dual_add_f32 v217, v176, v208 :: v_dual_sub_f32 v226, v209, v205
	v_dual_add_f32 v240, v178, v210 :: v_dual_add_f32 v241, v211, v207
	v_sub_f32_e32 v243, v211, v207
	v_dual_add_f32 v211, v179, v211 :: v_dual_add_f32 v216, v208, v204
	v_add_f32_e32 v227, v209, v205
	v_dual_add_f32 v209, v177, v209 :: v_dual_sub_f32 v208, v208, v204
	v_dual_add_f32 v239, v210, v206 :: v_dual_add_f32 v204, v217, v204
	v_sub_f32_e32 v210, v210, v206
	v_dual_add_f32 v206, v240, v206 :: v_dual_add_f32 v207, v211, v207
	s_waitcnt lgkmcnt(0)
	v_dual_sub_f32 v240, v201, v197 :: v_dual_add_f32 v211, v172, v200
	v_dual_add_f32 v246, v203, v199 :: v_dual_add_f32 v217, v201, v197
	v_add_f32_e32 v201, v173, v201
	v_add_f32_e32 v205, v209, v205
	v_dual_add_f32 v209, v200, v196 :: v_dual_add_f32 v244, v202, v198
	v_dual_sub_f32 v200, v200, v196 :: v_dual_add_f32 v245, v174, v202
	v_sub_f32_e32 v247, v203, v199
	v_dual_add_f32 v203, v175, v203 :: v_dual_add_f32 v248, v194, v190
	v_dual_add_f32 v196, v211, v196 :: v_dual_add_f32 v197, v201, v197
	;; [unrolled: 1-line block ×3, first 2 shown]
	v_dual_sub_f32 v218, v187, v183 :: v_dual_add_f32 v201, v192, v188
	s_delay_alu instid0(VALU_DEP_4)
	v_dual_sub_f32 v202, v202, v198 :: v_dual_add_f32 v199, v203, v199
	v_dual_sub_f32 v194, v194, v190 :: v_dual_add_f32 v203, v168, v192
	v_dual_add_f32 v211, v193, v189 :: v_dual_sub_f32 v192, v192, v188
	v_add_f32_e32 v198, v245, v198
	v_dual_sub_f32 v245, v193, v189 :: v_dual_sub_f32 v252, v184, v180
	v_dual_add_f32 v193, v169, v193 :: v_dual_add_f32 v254, v187, v183
	v_add_f32_e32 v190, v249, v190
	v_fma_f32 v168, -0.5, v201, v168
	v_add_f32_e32 v187, v167, v187
	s_barrier
	buffer_gl0_inv
	v_sub_f32_e32 v251, v195, v191
	v_add_f32_e32 v183, v187, v183
	scratch_load_b32 v187, off, off offset:224 ; 4-byte Folded Reload
	v_add_f32_e32 v195, v171, v195
	v_fma_f32 v176, -0.5, v216, v176
	v_fma_f32 v177, -0.5, v227, v177
	v_fma_f32 v178, -0.5, v239, v178
	v_fma_f32 v172, -0.5, v209, v172
	v_add_f32_e32 v191, v195, v191
	v_add_f32_e32 v195, v164, v184
	;; [unrolled: 1-line block ×4, first 2 shown]
	v_dual_sub_f32 v249, v185, v181 :: v_dual_add_f32 v184, v166, v186
	v_dual_add_f32 v188, v203, v188 :: v_dual_add_f32 v203, v185, v181
	v_add_f32_e32 v185, v165, v185
	v_fma_f32 v174, -0.5, v244, v174
	v_add_f32_e32 v253, v186, v182
	v_sub_f32_e32 v186, v186, v182
	s_delay_alu instid0(VALU_DEP_4)
	v_dual_add_f32 v182, v184, v182 :: v_dual_add_f32 v181, v185, v181
	v_fmamk_f32 v184, v226, 0xbf5db3d7, v176
	v_fma_f32 v170, -0.5, v248, v170
	v_dual_fmamk_f32 v185, v208, 0x3f5db3d7, v177 :: v_dual_fmac_f32 v176, 0x3f5db3d7, v226
	v_fmac_f32_e32 v177, 0xbf5db3d7, v208
	v_fma_f32 v164, -0.5, v193, v164
	v_fmac_f32_e32 v179, -0.5, v241
	v_fma_f32 v173, -0.5, v217, v173
	v_fmac_f32_e32 v167, -0.5, v254
	;; [unrolled: 2-line block ×3, first 2 shown]
	s_waitcnt vmcnt(0)
	ds_store_2addr_b64 v187, v[204:205], v[184:185] offset1:1
	ds_store_b64 v187, v[176:177] offset:16
	scratch_load_b32 v184, off, off offset:220 ; 4-byte Folded Reload
	v_fmamk_f32 v176, v243, 0xbf5db3d7, v178
	v_dual_fmamk_f32 v177, v210, 0x3f5db3d7, v179 :: v_dual_fmac_f32 v178, 0x3f5db3d7, v243
	v_fmac_f32_e32 v179, 0xbf5db3d7, v210
	v_fma_f32 v165, -0.5, v203, v165
	v_add_f32_e32 v185, v233, v231
	v_sub_f32_e32 v187, v231, v233
	v_add_f32_e32 v180, v195, v180
	s_waitcnt vmcnt(0)
	ds_store_2addr_b64 v184, v[206:207], v[176:177] offset1:1
	ds_store_b64 v184, v[178:179] offset:16
	scratch_load_b32 v178, off, off offset:216 ; 4-byte Folded Reload
	v_fmamk_f32 v176, v240, 0xbf5db3d7, v172
	v_dual_fmamk_f32 v177, v200, 0x3f5db3d7, v173 :: v_dual_fmac_f32 v172, 0x3f5db3d7, v240
	v_dual_fmac_f32 v173, 0xbf5db3d7, v200 :: v_dual_add_f32 v184, v232, v230
	v_fmac_f32_e32 v175, -0.5, v246
	v_fmamk_f32 v179, v186, 0x3f5db3d7, v167
	v_fmac_f32_e32 v167, 0xbf5db3d7, v186
	s_waitcnt vmcnt(0)
	ds_store_2addr_b64 v178, v[196:197], v[176:177] offset1:1
	ds_store_b64 v178, v[172:173] offset:16
	scratch_load_b32 v176, off, off offset:212 ; 4-byte Folded Reload
	v_fmamk_f32 v172, v247, 0xbf5db3d7, v174
	v_dual_fmamk_f32 v177, v252, 0x3f5db3d7, v165 :: v_dual_add_f32 v186, v234, v230
	v_dual_fmac_f32 v234, -0.5, v184 :: v_dual_fmamk_f32 v173, v202, 0x3f5db3d7, v175
	v_add_f32_e32 v184, v235, v231
	v_fmac_f32_e32 v174, 0x3f5db3d7, v247
	v_fmac_f32_e32 v175, 0xbf5db3d7, v202
	v_fmac_f32_e32 v165, 0xbf5db3d7, v252
	v_fmac_f32_e32 v235, -0.5, v185
	v_dual_sub_f32 v185, v230, v232 :: v_dual_add_f32 v230, v232, v186
	v_dual_fmamk_f32 v232, v187, 0xbf5db3d7, v234 :: v_dual_add_f32 v231, v233, v184
	v_fma_f32 v166, -0.5, v253, v166
	s_delay_alu instid0(VALU_DEP_3)
	v_fmamk_f32 v233, v185, 0x3f5db3d7, v235
	v_fmac_f32_e32 v235, 0xbf5db3d7, v185
	s_waitcnt vmcnt(0)
	ds_store_2addr_b64 v176, v[198:199], v[172:173] offset1:1
	ds_store_b64 v176, v[174:175] offset:16
	scratch_load_b32 v184, off, off offset:192 ; 4-byte Folded Reload
	v_fmamk_f32 v172, v245, 0xbf5db3d7, v168
	v_dual_fmamk_f32 v173, v192, 0x3f5db3d7, v169 :: v_dual_fmac_f32 v234, 0x3f5db3d7, v187
	v_fmac_f32_e32 v168, 0x3f5db3d7, v245
	v_dual_fmac_f32 v169, 0xbf5db3d7, v192 :: v_dual_fmamk_f32 v174, v251, 0xbf5db3d7, v170
	v_dual_fmamk_f32 v175, v194, 0x3f5db3d7, v171 :: v_dual_fmac_f32 v170, 0x3f5db3d7, v251
	v_dual_fmac_f32 v171, 0xbf5db3d7, v194 :: v_dual_fmamk_f32 v176, v249, 0xbf5db3d7, v164
	v_fmac_f32_e32 v164, 0x3f5db3d7, v249
	v_fmamk_f32 v178, v218, 0xbf5db3d7, v166
	v_fmac_f32_e32 v166, 0x3f5db3d7, v218
	s_waitcnt vmcnt(0)
	ds_store_2addr_b64 v184, v[188:189], v[172:173] offset1:1
	ds_store_b64 v184, v[168:169] offset:16
	scratch_load_b32 v168, off, off offset:204 ; 4-byte Folded Reload
	s_waitcnt vmcnt(0)
	ds_store_2addr_b64 v168, v[190:191], v[174:175] offset1:1
	ds_store_b64 v168, v[170:171] offset:16
	scratch_load_b32 v168, off, off offset:200 ; 4-byte Folded Reload
	;; [unrolled: 4-line block ×3, first 2 shown]
	s_waitcnt vmcnt(0)
	ds_store_2addr_b64 v164, v[182:183], v[178:179] offset1:1
	ds_store_b64 v164, v[166:167] offset:16
	s_and_saveexec_b32 s1, vcc_lo
	s_cbranch_execz .LBB0_21
; %bb.20:
	scratch_load_b32 v164, off, off offset:260 ; 4-byte Folded Reload
	s_waitcnt vmcnt(0)
	v_lshlrev_b32_e32 v164, 3, v164
	ds_store_2addr_b64 v164, v[230:231], v[232:233] offset1:1
	ds_store_b64 v164, v[234:235] offset:16
.LBB0_21:
	s_or_b32 exec_lo, exec_lo, s1
	v_add_nc_u32_e32 v164, 0x1000, v255
	v_add_nc_u32_e32 v165, 0x2000, v255
	s_waitcnt lgkmcnt(0)
	s_barrier
	buffer_gl0_inv
	ds_load_2addr_b64 v[208:211], v164 offset0:13 offset1:76
	ds_load_2addr_b64 v[204:207], v165 offset0:26 offset1:89
	;; [unrolled: 1-line block ×3, first 2 shown]
	v_add_nc_u32_e32 v164, 0x400, v255
	v_add_nc_u32_e32 v172, 0x1800, v255
	;; [unrolled: 1-line block ×4, first 2 shown]
	ds_load_2addr_b64 v[200:203], v165 offset0:152 offset1:215
	ds_load_2addr_b64 v[168:171], v164 offset0:124 offset1:187
	;; [unrolled: 1-line block ×7, first 2 shown]
	ds_load_2addr_b64 v[176:179], v255 offset1:63
	ds_load_2addr_b64 v[172:175], v255 offset0:126 offset1:189
	s_and_saveexec_b32 s1, vcc_lo
	s_cbranch_execz .LBB0_23
; %bb.22:
	ds_load_b64 v[230:231], v255 offset:4032
	ds_load_b64 v[232:233], v255 offset:8232
	;; [unrolled: 1-line block ×3, first 2 shown]
.LBB0_23:
	s_or_b32 exec_lo, exec_lo, s1
	s_waitcnt lgkmcnt(11)
	v_mul_f32_e32 v216, v49, v209
	v_mul_f32_e32 v49, v49, v208
	s_waitcnt lgkmcnt(0)
	s_barrier
	buffer_gl0_inv
	v_fmac_f32_e32 v216, v48, v208
	v_fma_f32 v48, v48, v209, -v49
	v_mul_f32_e32 v49, v51, v205
	v_mul_f32_e32 v51, v51, v204
	s_delay_alu instid0(VALU_DEP_2) | instskip(NEXT) | instid1(VALU_DEP_2)
	v_fmac_f32_e32 v49, v50, v204
	v_fma_f32 v50, v50, v205, -v51
	v_mul_f32_e32 v51, v45, v211
	v_mul_f32_e32 v45, v45, v210
	s_delay_alu instid0(VALU_DEP_2) | instskip(NEXT) | instid1(VALU_DEP_2)
	;; [unrolled: 5-line block ×12, first 2 shown]
	v_fmac_f32_e32 v27, v20, v184
	v_fma_f32 v184, v20, v185, -v21
	v_mul_f32_e32 v185, v23, v181
	v_dual_mul_f32 v20, v23, v180 :: v_dual_sub_f32 v23, v216, v49
	s_delay_alu instid0(VALU_DEP_2) | instskip(NEXT) | instid1(VALU_DEP_2)
	v_fmac_f32_e32 v185, v22, v180
	v_fma_f32 v180, v22, v181, -v20
	v_mul_f32_e32 v181, v17, v187
	v_mul_f32_e32 v17, v17, v186
	v_sub_f32_e32 v22, v48, v50
	s_delay_alu instid0(VALU_DEP_3) | instskip(NEXT) | instid1(VALU_DEP_3)
	v_fmac_f32_e32 v181, v16, v186
	v_fma_f32 v186, v16, v187, -v17
	v_mul_f32_e32 v187, v19, v183
	v_mul_f32_e32 v16, v19, v182
	v_mul_f32_e32 v17, v15, v235
	s_delay_alu instid0(VALU_DEP_3) | instskip(NEXT) | instid1(VALU_DEP_3)
	v_fmac_f32_e32 v187, v18, v182
	v_fma_f32 v182, v18, v183, -v16
	v_mul_f32_e32 v16, v13, v233
	v_mul_f32_e32 v13, v13, v232
	s_delay_alu instid0(VALU_DEP_2) | instskip(NEXT) | instid1(VALU_DEP_2)
	v_dual_fmac_f32 v17, v14, v234 :: v_dual_fmac_f32 v16, v12, v232
	v_fma_f32 v18, v12, v233, -v13
	v_dual_mul_f32 v12, v15, v234 :: v_dual_add_f32 v13, v177, v48
	v_add_f32_e32 v15, v48, v50
	scratch_load_b32 v48, off, off offset:232 ; 4-byte Folded Reload
	v_fma_f32 v19, v14, v235, -v12
	v_add_f32_e32 v14, v216, v49
	v_add_f32_e32 v12, v176, v216
	v_fma_f32 v15, -0.5, v15, v177
	v_add_f32_e32 v13, v13, v50
	s_delay_alu instid0(VALU_DEP_4) | instskip(NEXT) | instid1(VALU_DEP_3)
	v_fma_f32 v14, -0.5, v14, v176
	v_dual_add_f32 v12, v12, v49 :: v_dual_fmamk_f32 v21, v23, 0x3f5db3d7, v15
	s_delay_alu instid0(VALU_DEP_2)
	v_dual_fmac_f32 v15, 0xbf5db3d7, v23 :: v_dual_fmamk_f32 v20, v22, 0xbf5db3d7, v14
	v_fmac_f32_e32 v14, 0x3f5db3d7, v22
	scratch_load_b32 v22, off, off offset:228 ; 4-byte Folded Reload
	s_waitcnt vmcnt(1)
	ds_store_2addr_b64 v48, v[12:13], v[20:21] offset1:3
	ds_store_b64 v48, v[14:15] offset:48
	v_dual_add_f32 v12, v51, v45 :: v_dual_add_f32 v15, v44, v46
	v_add_f32_e32 v14, v178, v51
	v_dual_sub_f32 v20, v44, v46 :: v_dual_sub_f32 v21, v51, v45
	s_delay_alu instid0(VALU_DEP_3) | instskip(NEXT) | instid1(VALU_DEP_4)
	v_fma_f32 v178, -0.5, v12, v178
	v_dual_add_f32 v12, v179, v44 :: v_dual_fmac_f32 v179, -0.5, v15
	v_sub_f32_e32 v23, v47, v41
	s_delay_alu instid0(VALU_DEP_2) | instskip(NEXT) | instid1(VALU_DEP_4)
	v_dual_add_f32 v13, v12, v46 :: v_dual_add_f32 v12, v14, v45
	v_fmamk_f32 v14, v20, 0xbf5db3d7, v178
	s_delay_alu instid0(VALU_DEP_4)
	v_dual_fmamk_f32 v15, v21, 0x3f5db3d7, v179 :: v_dual_fmac_f32 v178, 0x3f5db3d7, v20
	v_fmac_f32_e32 v179, 0xbf5db3d7, v21
	s_waitcnt vmcnt(0)
	ds_store_2addr_b64 v22, v[12:13], v[14:15] offset1:3
	v_add_f32_e32 v13, v173, v40
	ds_store_b64 v22, v[178:179] offset:48
	v_sub_f32_e32 v22, v40, v42
	v_add_f32_e32 v15, v40, v42
	scratch_load_b32 v40, off, off offset:208 ; 4-byte Folded Reload
	v_add_f32_e32 v14, v47, v41
	v_dual_add_f32 v12, v172, v47 :: v_dual_add_f32 v13, v13, v42
	v_fma_f32 v15, -0.5, v15, v173
	s_delay_alu instid0(VALU_DEP_3) | instskip(NEXT) | instid1(VALU_DEP_2)
	v_fma_f32 v14, -0.5, v14, v172
	v_dual_add_f32 v12, v12, v41 :: v_dual_fmamk_f32 v21, v23, 0x3f5db3d7, v15
	s_delay_alu instid0(VALU_DEP_2)
	v_dual_fmac_f32 v15, 0xbf5db3d7, v23 :: v_dual_fmamk_f32 v20, v22, 0xbf5db3d7, v14
	v_fmac_f32_e32 v14, 0x3f5db3d7, v22
	v_sub_f32_e32 v22, v32, v34
	s_waitcnt vmcnt(0)
	ds_store_2addr_b64 v40, v[12:13], v[20:21] offset1:3
	v_add_f32_e32 v12, v43, v29
	ds_store_b64 v40, v[14:15] offset:48
	v_dual_add_f32 v14, v174, v43 :: v_dual_sub_f32 v21, v43, v29
	scratch_load_b32 v40, off, off offset:184 ; 4-byte Folded Reload
	v_fma_f32 v174, -0.5, v12, v174
	v_dual_add_f32 v12, v175, v28 :: v_dual_add_f32 v15, v28, v30
	v_dual_sub_f32 v20, v28, v30 :: v_dual_sub_f32 v23, v31, v33
	s_delay_alu instid0(VALU_DEP_2) | instskip(SKIP_4) | instid1(VALU_DEP_3)
	v_dual_add_f32 v13, v12, v30 :: v_dual_add_f32 v12, v14, v29
	scratch_load_b32 v29, off, off offset:188 ; 4-byte Folded Reload
	v_dual_fmac_f32 v175, -0.5, v15 :: v_dual_fmamk_f32 v14, v20, 0xbf5db3d7, v174
	v_fmac_f32_e32 v174, 0x3f5db3d7, v20
	v_add_f32_e32 v28, v35, v25
	v_dual_add_f32 v30, v167, v186 :: v_dual_fmamk_f32 v15, v21, 0x3f5db3d7, v175
	v_fmac_f32_e32 v175, 0xbf5db3d7, v21
	s_waitcnt vmcnt(0)
	ds_store_2addr_b64 v29, v[12:13], v[14:15] offset1:3
	v_dual_add_f32 v12, v31, v33 :: v_dual_add_f32 v13, v32, v34
	v_dual_add_f32 v14, v168, v31 :: v_dual_add_f32 v15, v169, v32
	ds_store_b64 v29, v[174:175] offset:48
	v_fma_f32 v12, -0.5, v12, v168
	v_fma_f32 v13, -0.5, v13, v169
	v_dual_add_f32 v14, v14, v33 :: v_dual_add_f32 v15, v15, v34
	v_add_f32_e32 v29, v170, v35
	s_delay_alu instid0(VALU_DEP_4) | instskip(NEXT) | instid1(VALU_DEP_4)
	v_fmamk_f32 v20, v22, 0xbf5db3d7, v12
	v_fmamk_f32 v21, v23, 0x3f5db3d7, v13
	v_fma_f32 v170, -0.5, v28, v170
	v_sub_f32_e32 v28, v24, v26
	v_fmac_f32_e32 v12, 0x3f5db3d7, v22
	v_fmac_f32_e32 v13, 0xbf5db3d7, v23
	ds_store_2addr_b64 v40, v[14:15], v[20:21] offset1:3
	v_dual_add_f32 v14, v24, v26 :: v_dual_add_f32 v15, v171, v24
	v_add_f32_e32 v21, v27, v185
	v_add_f32_e32 v22, v29, v25
	s_delay_alu instid0(VALU_DEP_3)
	v_dual_fmamk_f32 v20, v28, 0xbf5db3d7, v170 :: v_dual_fmac_f32 v171, -0.5, v14
	v_sub_f32_e32 v14, v35, v25
	v_add_f32_e32 v23, v15, v26
	v_add_f32_e32 v15, v164, v27
	;; [unrolled: 1-line block ×3, first 2 shown]
	v_fmac_f32_e32 v170, 0x3f5db3d7, v28
	v_fma_f32 v24, -0.5, v21, v164
	v_fmamk_f32 v21, v14, 0x3f5db3d7, v171
	v_dual_fmac_f32 v171, 0xbf5db3d7, v14 :: v_dual_sub_f32 v14, v184, v180
	v_add_f32_e32 v28, v165, v184
	v_fma_f32 v25, -0.5, v25, v165
	v_add_f32_e32 v26, v15, v185
	v_sub_f32_e32 v15, v27, v185
	v_add_f32_e32 v29, v181, v187
	v_dual_add_f32 v27, v28, v180 :: v_dual_fmamk_f32 v28, v14, 0xbf5db3d7, v24
	v_fmac_f32_e32 v24, 0x3f5db3d7, v14
	v_add_f32_e32 v14, v166, v181
	s_delay_alu instid0(VALU_DEP_4)
	v_fma_f32 v166, -0.5, v29, v166
	v_fmamk_f32 v29, v15, 0x3f5db3d7, v25
	v_fmac_f32_e32 v25, 0xbf5db3d7, v15
	v_add_f32_e32 v15, v186, v182
	v_dual_sub_f32 v33, v186, v182 :: v_dual_sub_f32 v34, v181, v187
	ds_store_b64 v40, v[12:13] offset:48
	v_add_f32_e32 v31, v30, v182
	v_dual_fmac_f32 v167, -0.5, v15 :: v_dual_fmamk_f32 v32, v33, 0xbf5db3d7, v166
	v_fmac_f32_e32 v166, 0x3f5db3d7, v33
	v_add_f32_e32 v30, v14, v187
	s_delay_alu instid0(VALU_DEP_3)
	v_dual_add_f32 v14, v17, v16 :: v_dual_fmamk_f32 v33, v34, 0x3f5db3d7, v167
	v_fmac_f32_e32 v167, 0xbf5db3d7, v34
	scratch_load_b32 v34, off, off offset:180 ; 4-byte Folded Reload
	v_add_f32_e32 v15, v19, v18
	v_fma_f32 v14, -0.5, v14, v230
	v_sub_f32_e32 v13, v18, v19
	v_sub_f32_e32 v35, v16, v17
	s_waitcnt vmcnt(0)
	ds_store_2addr_b64 v34, v[22:23], v[20:21] offset1:3
	ds_store_b64 v34, v[170:171] offset:48
	scratch_load_b32 v20, off, off offset:176 ; 4-byte Folded Reload
	v_fma_f32 v15, -0.5, v15, v231
	v_fmamk_f32 v12, v13, 0xbf5db3d7, v14
	v_fmac_f32_e32 v14, 0x3f5db3d7, v13
	s_waitcnt vmcnt(0)
	ds_store_2addr_b64 v20, v[26:27], v[28:29] offset1:3
	ds_store_b64 v20, v[24:25] offset:48
	scratch_load_b32 v20, off, off offset:172 ; 4-byte Folded Reload
	v_fmamk_f32 v13, v35, 0x3f5db3d7, v15
	v_fmac_f32_e32 v15, 0xbf5db3d7, v35
	s_waitcnt vmcnt(0)
	ds_store_2addr_b64 v20, v[30:31], v[32:33] offset1:3
	ds_store_b64 v20, v[166:167] offset:48
	s_and_saveexec_b32 s1, vcc_lo
	s_cbranch_execz .LBB0_25
; %bb.24:
	scratch_load_b32 v20, off, off offset:168 ; 4-byte Folded Reload
	v_add_f32_e32 v16, v230, v16
	s_delay_alu instid0(VALU_DEP_1) | instskip(NEXT) | instid1(VALU_DEP_1)
	v_dual_add_f32 v18, v231, v18 :: v_dual_add_f32 v17, v17, v16
	v_add_f32_e32 v18, v19, v18
	s_waitcnt vmcnt(0)
	v_and_b32_e32 v20, 0xffff, v20
	s_delay_alu instid0(VALU_DEP_1)
	v_lshlrev_b32_e32 v16, 3, v20
	ds_store_2addr_b64 v16, v[17:18], v[12:13] offset1:3
	ds_store_b64 v16, v[14:15] offset:48
.LBB0_25:
	s_or_b32 exec_lo, exec_lo, s1
	s_waitcnt lgkmcnt(0)
	s_barrier
	buffer_gl0_inv
	ds_load_b64 v[16:17], v255 offset:12096
	v_add_nc_u32_e32 v21, 0xc00, v255
	v_add_nc_u32_e32 v23, 0x800, v255
	;; [unrolled: 1-line block ×3, first 2 shown]
	s_waitcnt lgkmcnt(0)
	v_mul_f32_e32 v18, v123, v17
	s_delay_alu instid0(VALU_DEP_1) | instskip(SKIP_1) | instid1(VALU_DEP_1)
	v_fmac_f32_e32 v18, v122, v16
	v_mul_f32_e32 v16, v123, v16
	v_fma_f32 v22, v122, v17, -v16
	v_add_nc_u32_e32 v16, 0x2000, v255
	ds_load_2addr_b64 v[26:29], v16 offset0:110 offset1:173
	s_waitcnt lgkmcnt(0)
	v_mul_f32_e32 v17, v121, v28
	v_mul_f32_e32 v25, v121, v29
	;; [unrolled: 1-line block ×3, first 2 shown]
	s_delay_alu instid0(VALU_DEP_3) | instskip(SKIP_1) | instid1(VALU_DEP_4)
	v_fma_f32 v24, v120, v29, -v17
	v_mul_f32_e32 v17, v117, v26
	v_fmac_f32_e32 v25, v120, v28
	s_delay_alu instid0(VALU_DEP_4) | instskip(NEXT) | instid1(VALU_DEP_3)
	v_fmac_f32_e32 v33, v116, v26
	v_fma_f32 v31, v116, v27, -v17
	v_add_nc_u32_e32 v17, 0x2800, v255
	ds_load_2addr_b64 v[26:29], v17 offset0:106 offset1:169
	s_waitcnt lgkmcnt(0)
	v_mul_f32_e32 v19, v119, v28
	v_mul_f32_e32 v34, v119, v29
	;; [unrolled: 1-line block ×3, first 2 shown]
	s_delay_alu instid0(VALU_DEP_3) | instskip(NEXT) | instid1(VALU_DEP_3)
	v_fma_f32 v32, v118, v29, -v19
	v_dual_mul_f32 v19, v115, v26 :: v_dual_fmac_f32 v34, v118, v28
	s_delay_alu instid0(VALU_DEP_3) | instskip(NEXT) | instid1(VALU_DEP_2)
	v_fmac_f32_e32 v41, v114, v26
	v_fma_f32 v40, v114, v27, -v19
	v_add_nc_u32_e32 v19, 0x1c00, v255
	ds_load_2addr_b64 v[26:29], v19 offset0:112 offset1:175
	s_waitcnt lgkmcnt(0)
	v_mul_f32_e32 v19, v113, v28
	v_mul_f32_e32 v43, v113, v29
	;; [unrolled: 1-line block ×3, first 2 shown]
	s_delay_alu instid0(VALU_DEP_3) | instskip(SKIP_1) | instid1(VALU_DEP_4)
	v_fma_f32 v42, v112, v29, -v19
	v_mul_f32_e32 v19, v37, v26
	v_fmac_f32_e32 v43, v112, v28
	s_delay_alu instid0(VALU_DEP_4) | instskip(NEXT) | instid1(VALU_DEP_3)
	v_fmac_f32_e32 v47, v36, v26
	v_fma_f32 v48, v36, v27, -v19
	v_add_nc_u32_e32 v19, 0x2400, v255
	ds_load_2addr_b64 v[26:29], v19 offset0:108 offset1:171
	s_waitcnt lgkmcnt(0)
	v_mul_f32_e32 v19, v39, v28
	v_mul_f32_e32 v49, v39, v29
	;; [unrolled: 1-line block ×4, first 2 shown]
	s_delay_alu instid0(VALU_DEP_4)
	v_fma_f32 v50, v38, v29, -v19
	v_add_nc_u32_e32 v19, 0x1800, v255
	v_fmac_f32_e32 v49, v38, v28
	v_fmac_f32_e32 v113, v10, v26
	v_fma_f32 v112, v10, v27, -v11
	ds_load_2addr_b64 v[26:29], v19 offset0:114 offset1:177
	s_waitcnt lgkmcnt(0)
	v_mul_f32_e32 v115, v9, v29
	v_mul_f32_e32 v9, v9, v28
	s_delay_alu instid0(VALU_DEP_2) | instskip(NEXT) | instid1(VALU_DEP_2)
	v_fmac_f32_e32 v115, v8, v28
	v_fma_f32 v114, v8, v29, -v9
	v_mul_f32_e32 v8, v111, v26
	v_mul_f32_e32 v29, v111, v27
	s_delay_alu instid0(VALU_DEP_2)
	v_fma_f32 v27, v110, v27, -v8
	ds_load_2addr_b64 v[8:11], v21 offset0:120 offset1:183
	v_dual_fmac_f32 v29, v110, v26 :: v_dual_add_nc_u32 v26, 0x1000, v255
	s_waitcnt lgkmcnt(0)
	v_mul_f32_e32 v28, v109, v11
	v_mul_f32_e32 v36, v105, v9
	s_delay_alu instid0(VALU_DEP_2) | instskip(SKIP_1) | instid1(VALU_DEP_3)
	v_fmac_f32_e32 v28, v108, v10
	v_mul_f32_e32 v10, v109, v10
	v_fmac_f32_e32 v36, v104, v8
	v_mul_f32_e32 v8, v105, v8
	s_delay_alu instid0(VALU_DEP_3) | instskip(NEXT) | instid1(VALU_DEP_2)
	v_fma_f32 v30, v108, v11, -v10
	v_fma_f32 v35, v104, v9, -v8
	ds_load_2addr_b64 v[8:11], v20 offset0:116 offset1:179
	s_waitcnt lgkmcnt(0)
	v_mul_f32_e32 v38, v107, v11
	v_mul_f32_e32 v44, v103, v9
	s_delay_alu instid0(VALU_DEP_2) | instskip(SKIP_1) | instid1(VALU_DEP_3)
	v_fmac_f32_e32 v38, v106, v10
	v_mul_f32_e32 v10, v107, v10
	v_fmac_f32_e32 v44, v102, v8
	v_mul_f32_e32 v8, v103, v8
	s_delay_alu instid0(VALU_DEP_3) | instskip(NEXT) | instid1(VALU_DEP_2)
	v_fma_f32 v37, v106, v11, -v10
	v_fma_f32 v39, v102, v9, -v8
	ds_load_2addr_b64 v[8:11], v23 offset0:122 offset1:185
	s_waitcnt lgkmcnt(0)
	v_mul_f32_e32 v46, v101, v11
	v_mul_f32_e32 v51, v5, v9
	s_delay_alu instid0(VALU_DEP_2) | instskip(NEXT) | instid1(VALU_DEP_2)
	v_dual_mul_f32 v5, v5, v8 :: v_dual_fmac_f32 v46, v100, v10
	v_dual_mul_f32 v10, v101, v10 :: v_dual_fmac_f32 v51, v4, v8
	s_delay_alu instid0(VALU_DEP_1) | instskip(NEXT) | instid1(VALU_DEP_3)
	v_fma_f32 v45, v100, v11, -v10
	v_fma_f32 v100, v4, v9, -v5
	ds_load_2addr_b64 v[8:11], v26 offset0:118 offset1:181
	s_waitcnt lgkmcnt(0)
	v_mul_f32_e32 v105, v3, v9
	v_mul_f32_e32 v3, v3, v8
	;; [unrolled: 1-line block ×3, first 2 shown]
	s_delay_alu instid0(VALU_DEP_2) | instskip(NEXT) | instid1(VALU_DEP_4)
	v_fma_f32 v104, v2, v9, -v3
	v_dual_fmac_f32 v105, v2, v8 :: v_dual_add_nc_u32 v2, 0x400, v255
	s_delay_alu instid0(VALU_DEP_3) | instskip(NEXT) | instid1(VALU_DEP_3)
	v_fma_f32 v102, v6, v11, -v4
	v_dual_sub_f32 v118, v104, v114 :: v_dual_mul_f32 v101, v7, v11
	ds_load_2addr_b64 v[2:5], v2 offset0:124 offset1:187
	s_waitcnt lgkmcnt(0)
	v_mul_f32_e32 v107, v1, v5
	v_mul_f32_e32 v1, v1, v4
	s_delay_alu instid0(VALU_DEP_1) | instskip(NEXT) | instid1(VALU_DEP_1)
	v_fma_f32 v106, v0, v5, -v1
	v_sub_f32_e32 v111, v106, v112
	s_delay_alu instid0(VALU_DEP_4) | instskip(NEXT) | instid1(VALU_DEP_1)
	v_fmac_f32_e32 v107, v0, v4
	v_dual_sub_f32 v0, v107, v105 :: v_dual_fmac_f32 v101, v6, v10
	v_sub_f32_e32 v120, v105, v115
	ds_load_2addr_b64 v[8:11], v255 offset1:63
	v_sub_f32_e32 v1, v113, v115
	v_sub_f32_e32 v119, v107, v113
	s_delay_alu instid0(VALU_DEP_2) | instskip(SKIP_2) | instid1(VALU_DEP_2)
	v_dual_add_f32 v103, v0, v1 :: v_dual_add_f32 v0, v105, v115
	v_add_f32_e32 v1, v104, v114
	s_waitcnt lgkmcnt(0)
	v_fma_f32 v0, -0.5, v0, v8
	v_dual_add_f32 v4, v8, v107 :: v_dual_add_f32 v5, v9, v106
	s_delay_alu instid0(VALU_DEP_3) | instskip(NEXT) | instid1(VALU_DEP_3)
	v_fma_f32 v1, -0.5, v1, v9
	v_fmamk_f32 v116, v111, 0xbf737871, v0
	v_fmac_f32_e32 v0, 0x3f737871, v111
	s_delay_alu instid0(VALU_DEP_4) | instskip(NEXT) | instid1(VALU_DEP_4)
	v_dual_add_f32 v4, v4, v105 :: v_dual_add_f32 v5, v5, v104
	v_fmamk_f32 v117, v119, 0x3f737871, v1
	s_delay_alu instid0(VALU_DEP_4) | instskip(NEXT) | instid1(VALU_DEP_4)
	v_fmac_f32_e32 v116, 0xbf167918, v118
	v_fmac_f32_e32 v0, 0x3f167918, v118
	s_delay_alu instid0(VALU_DEP_4) | instskip(NEXT) | instid1(VALU_DEP_4)
	v_dual_add_f32 v4, v4, v115 :: v_dual_add_f32 v5, v5, v114
	v_fmac_f32_e32 v117, 0x3f167918, v120
	s_delay_alu instid0(VALU_DEP_4) | instskip(SKIP_1) | instid1(VALU_DEP_4)
	v_fmac_f32_e32 v116, 0x3e9e377a, v103
	v_sub_f32_e32 v105, v105, v107
	v_dual_add_f32 v109, v4, v113 :: v_dual_add_f32 v110, v5, v112
	v_dual_sub_f32 v4, v106, v104 :: v_dual_sub_f32 v5, v112, v114
	v_add_f32_e32 v107, v107, v113
	s_delay_alu instid0(VALU_DEP_2)
	v_add_f32_e32 v108, v4, v5
	ds_load_2addr_b64 v[4:7], v255 offset0:126 offset1:189
	s_waitcnt lgkmcnt(0)
	s_barrier
	buffer_gl0_inv
	scratch_load_b32 v121, off, off offset:240 ; 4-byte Folded Reload
	v_fmac_f32_e32 v117, 0x3e9e377a, v108
	v_fma_f32 v8, -0.5, v107, v8
	v_sub_f32_e32 v107, v114, v112
	s_waitcnt vmcnt(0)
	ds_store_2addr_b64 v121, v[109:110], v[116:117] offset1:9
	v_sub_f32_e32 v109, v115, v113
	s_delay_alu instid0(VALU_DEP_1) | instskip(SKIP_3) | instid1(VALU_DEP_3)
	v_add_f32_e32 v105, v105, v109
	v_dual_add_f32 v109, v106, v112 :: v_dual_sub_f32 v106, v104, v106
	v_fmamk_f32 v104, v118, 0x3f737871, v8
	v_fmac_f32_e32 v8, 0xbf737871, v118
	v_fma_f32 v9, -0.5, v109, v9
	s_delay_alu instid0(VALU_DEP_4) | instskip(NEXT) | instid1(VALU_DEP_4)
	v_add_f32_e32 v106, v106, v107
	v_fmac_f32_e32 v104, 0xbf167918, v111
	s_delay_alu instid0(VALU_DEP_4) | instskip(SKIP_2) | instid1(VALU_DEP_4)
	v_fmac_f32_e32 v8, 0x3f167918, v111
	v_fmac_f32_e32 v0, 0x3e9e377a, v103
	v_add_f32_e32 v103, v10, v51
	v_dual_sub_f32 v107, v48, v50 :: v_dual_fmac_f32 v104, 0x3e9e377a, v105
	s_delay_alu instid0(VALU_DEP_4) | instskip(SKIP_3) | instid1(VALU_DEP_3)
	v_fmac_f32_e32 v8, 0x3e9e377a, v105
	v_fmamk_f32 v105, v120, 0xbf737871, v9
	v_fmac_f32_e32 v9, 0x3f737871, v120
	v_sub_f32_e32 v109, v51, v49
	v_fmac_f32_e32 v105, 0x3f167918, v119
	s_delay_alu instid0(VALU_DEP_3) | instskip(NEXT) | instid1(VALU_DEP_2)
	v_fmac_f32_e32 v9, 0xbf167918, v119
	v_fmac_f32_e32 v105, 0x3e9e377a, v106
	s_delay_alu instid0(VALU_DEP_2) | instskip(SKIP_3) | instid1(VALU_DEP_1)
	v_dual_fmac_f32 v9, 0x3e9e377a, v106 :: v_dual_add_f32 v106, v11, v100
	ds_store_2addr_b64 v121, v[104:105], v[8:9] offset0:18 offset1:27
	v_dual_sub_f32 v104, v102, v48 :: v_dual_sub_f32 v105, v100, v50
	v_dual_fmac_f32 v1, 0xbf737871, v119 :: v_dual_sub_f32 v8, v47, v49
	v_fmac_f32_e32 v1, 0xbf167918, v120
	s_delay_alu instid0(VALU_DEP_1) | instskip(SKIP_2) | instid1(VALU_DEP_1)
	v_dual_fmac_f32 v1, 0x3e9e377a, v108 :: v_dual_sub_f32 v108, v101, v47
	ds_store_b64 v121, v[0:1] offset:288
	v_dual_add_f32 v0, v101, v47 :: v_dual_add_f32 v1, v51, v49
	v_fma_f32 v0, -0.5, v0, v10
	s_delay_alu instid0(VALU_DEP_2) | instskip(SKIP_1) | instid1(VALU_DEP_1)
	v_fma_f32 v10, -0.5, v1, v10
	v_sub_f32_e32 v1, v101, v51
	v_dual_add_f32 v9, v1, v8 :: v_dual_fmamk_f32 v8, v104, 0x3f737871, v10
	v_fmac_f32_e32 v10, 0xbf737871, v104
	s_delay_alu instid0(VALU_DEP_2) | instskip(NEXT) | instid1(VALU_DEP_2)
	v_dual_add_f32 v1, v102, v48 :: v_dual_fmac_f32 v8, 0xbf167918, v105
	v_fmac_f32_e32 v10, 0x3f167918, v105
	s_delay_alu instid0(VALU_DEP_2) | instskip(NEXT) | instid1(VALU_DEP_3)
	v_fma_f32 v1, -0.5, v1, v11
	v_fmac_f32_e32 v8, 0x3e9e377a, v9
	s_delay_alu instid0(VALU_DEP_3) | instskip(NEXT) | instid1(VALU_DEP_1)
	v_dual_fmac_f32 v10, 0x3e9e377a, v9 :: v_dual_add_f32 v9, v100, v50
	v_fmac_f32_e32 v11, -0.5, v9
	v_sub_f32_e32 v9, v102, v100
	s_delay_alu instid0(VALU_DEP_1) | instskip(NEXT) | instid1(VALU_DEP_3)
	v_add_f32_e32 v107, v9, v107
	v_fmamk_f32 v9, v108, 0xbf737871, v11
	v_fmac_f32_e32 v11, 0x3f737871, v108
	s_delay_alu instid0(VALU_DEP_2) | instskip(NEXT) | instid1(VALU_DEP_2)
	v_fmac_f32_e32 v9, 0x3f167918, v109
	v_fmac_f32_e32 v11, 0xbf167918, v109
	s_delay_alu instid0(VALU_DEP_2) | instskip(NEXT) | instid1(VALU_DEP_2)
	v_fmac_f32_e32 v9, 0x3e9e377a, v107
	v_fmac_f32_e32 v11, 0x3e9e377a, v107
	scratch_load_b32 v107, off, off offset:252 ; 4-byte Folded Reload
	s_waitcnt vmcnt(0)
	ds_store_2addr_b64 v107, v[8:9], v[10:11] offset0:18 offset1:27
	v_add_f32_e32 v8, v103, v101
	v_sub_f32_e32 v10, v51, v101
	scratch_load_b32 v101, off, off offset:236 ; 4-byte Folded Reload
	v_dual_sub_f32 v51, v46, v41 :: v_dual_add_f32 v8, v8, v47
	s_delay_alu instid0(VALU_DEP_1) | instskip(SKIP_2) | instid1(VALU_DEP_3)
	v_dual_sub_f32 v47, v49, v47 :: v_dual_add_f32 v8, v8, v49
	v_sub_f32_e32 v49, v45, v40
	v_add_f32_e32 v9, v106, v102
	v_dual_add_f32 v47, v10, v47 :: v_dual_fmamk_f32 v10, v105, 0xbf737871, v0
	s_delay_alu instid0(VALU_DEP_2) | instskip(SKIP_1) | instid1(VALU_DEP_3)
	v_dual_fmac_f32 v0, 0x3f737871, v105 :: v_dual_add_f32 v9, v9, v48
	v_sub_f32_e32 v48, v50, v48
	v_fmac_f32_e32 v10, 0xbf167918, v104
	s_delay_alu instid0(VALU_DEP_3) | instskip(SKIP_1) | instid1(VALU_DEP_2)
	v_dual_fmac_f32 v0, 0x3f167918, v104 :: v_dual_add_f32 v9, v9, v50
	v_sub_f32_e32 v50, v39, v42
	v_dual_sub_f32 v11, v100, v102 :: v_dual_fmac_f32 v0, 0x3e9e377a, v47
	s_delay_alu instid0(VALU_DEP_4) | instskip(SKIP_1) | instid1(VALU_DEP_3)
	v_fmac_f32_e32 v10, 0x3e9e377a, v47
	v_sub_f32_e32 v100, v44, v43
	v_dual_add_f32 v48, v11, v48 :: v_dual_fmamk_f32 v11, v109, 0x3f737871, v1
	v_fmac_f32_e32 v1, 0xbf737871, v109
	s_delay_alu instid0(VALU_DEP_2) | instskip(NEXT) | instid1(VALU_DEP_2)
	v_fmac_f32_e32 v11, 0x3f167918, v108
	v_fmac_f32_e32 v1, 0xbf167918, v108
	s_delay_alu instid0(VALU_DEP_2) | instskip(NEXT) | instid1(VALU_DEP_2)
	v_fmac_f32_e32 v11, 0x3e9e377a, v48
	v_fmac_f32_e32 v1, 0x3e9e377a, v48
	ds_store_2addr_b64 v107, v[8:9], v[10:11] offset1:9
	ds_store_b64 v107, v[0:1] offset:288
	v_dual_sub_f32 v0, v46, v44 :: v_dual_sub_f32 v1, v41, v43
	v_dual_add_f32 v8, v4, v46 :: v_dual_add_f32 v9, v5, v45
	v_dual_sub_f32 v10, v45, v39 :: v_dual_sub_f32 v11, v40, v42
	s_delay_alu instid0(VALU_DEP_3) | instskip(SKIP_1) | instid1(VALU_DEP_4)
	v_add_f32_e32 v47, v0, v1
	v_dual_add_f32 v0, v44, v43 :: v_dual_add_f32 v1, v39, v42
	v_dual_add_f32 v8, v8, v44 :: v_dual_add_f32 v9, v9, v39
	s_delay_alu instid0(VALU_DEP_4) | instskip(NEXT) | instid1(VALU_DEP_3)
	v_add_f32_e32 v48, v10, v11
	v_fma_f32 v0, -0.5, v0, v4
	s_delay_alu instid0(VALU_DEP_4) | instskip(NEXT) | instid1(VALU_DEP_4)
	v_fma_f32 v1, -0.5, v1, v5
	v_dual_add_f32 v8, v8, v43 :: v_dual_add_f32 v9, v9, v42
	s_delay_alu instid0(VALU_DEP_3) | instskip(NEXT) | instid1(VALU_DEP_2)
	v_fmamk_f32 v10, v49, 0xbf737871, v0
	v_dual_fmamk_f32 v11, v51, 0x3f737871, v1 :: v_dual_add_f32 v8, v8, v41
	s_delay_alu instid0(VALU_DEP_2) | instskip(NEXT) | instid1(VALU_DEP_2)
	v_dual_add_f32 v9, v9, v40 :: v_dual_fmac_f32 v10, 0xbf167918, v50
	v_fmac_f32_e32 v11, 0x3f167918, v100
	s_delay_alu instid0(VALU_DEP_1)
	v_dual_fmac_f32 v10, 0x3e9e377a, v47 :: v_dual_fmac_f32 v11, 0x3e9e377a, v48
	s_waitcnt vmcnt(0)
	ds_store_2addr_b64 v101, v[8:9], v[10:11] offset1:9
	v_dual_sub_f32 v8, v44, v46 :: v_dual_sub_f32 v9, v43, v41
	v_add_f32_e32 v10, v46, v41
	v_sub_f32_e32 v11, v42, v40
	s_delay_alu instid0(VALU_DEP_3) | instskip(NEXT) | instid1(VALU_DEP_3)
	v_dual_add_f32 v9, v8, v9 :: v_dual_add_f32 v8, v45, v40
	v_fma_f32 v4, -0.5, v10, v4
	v_sub_f32_e32 v10, v39, v45
	s_delay_alu instid0(VALU_DEP_3) | instskip(NEXT) | instid1(VALU_DEP_3)
	v_fma_f32 v5, -0.5, v8, v5
	v_fmamk_f32 v8, v50, 0x3f737871, v4
	v_fmac_f32_e32 v4, 0xbf737871, v50
	s_delay_alu instid0(VALU_DEP_4) | instskip(NEXT) | instid1(VALU_DEP_3)
	v_dual_add_f32 v10, v10, v11 :: v_dual_add_f32 v11, v35, v32
	v_fmac_f32_e32 v8, 0xbf167918, v49
	s_delay_alu instid0(VALU_DEP_3) | instskip(NEXT) | instid1(VALU_DEP_2)
	v_fmac_f32_e32 v4, 0x3f167918, v49
	v_fmac_f32_e32 v8, 0x3e9e377a, v9
	s_delay_alu instid0(VALU_DEP_2) | instskip(SKIP_2) | instid1(VALU_DEP_2)
	v_fmac_f32_e32 v4, 0x3e9e377a, v9
	v_fmamk_f32 v9, v100, 0xbf737871, v5
	v_fmac_f32_e32 v5, 0x3f737871, v100
	v_fmac_f32_e32 v9, 0x3f167918, v51
	s_delay_alu instid0(VALU_DEP_2) | instskip(NEXT) | instid1(VALU_DEP_2)
	v_fmac_f32_e32 v5, 0xbf167918, v51
	v_fmac_f32_e32 v9, 0x3e9e377a, v10
	s_delay_alu instid0(VALU_DEP_2) | instskip(SKIP_3) | instid1(VALU_DEP_2)
	v_dual_fmac_f32 v5, 0x3e9e377a, v10 :: v_dual_sub_f32 v10, v35, v32
	ds_store_2addr_b64 v101, v[8:9], v[4:5] offset0:18 offset1:27
	v_dual_sub_f32 v4, v36, v38 :: v_dual_sub_f32 v5, v34, v33
	v_dual_add_f32 v8, v38, v33 :: v_dual_add_f32 v9, v36, v34
	v_dual_add_f32 v4, v4, v5 :: v_dual_add_f32 v5, v6, v36
	s_delay_alu instid0(VALU_DEP_2) | instskip(NEXT) | instid1(VALU_DEP_3)
	v_fma_f32 v39, -0.5, v8, v6
	v_fma_f32 v6, -0.5, v9, v6
	v_dual_sub_f32 v8, v38, v36 :: v_dual_sub_f32 v9, v33, v34
	s_delay_alu instid0(VALU_DEP_3) | instskip(NEXT) | instid1(VALU_DEP_2)
	v_fmamk_f32 v41, v10, 0xbf737871, v39
	v_dual_fmac_f32 v39, 0x3f737871, v10 :: v_dual_add_f32 v8, v8, v9
	v_sub_f32_e32 v9, v37, v31
	s_delay_alu instid0(VALU_DEP_1) | instskip(NEXT) | instid1(VALU_DEP_3)
	v_fmac_f32_e32 v41, 0xbf167918, v9
	v_fmac_f32_e32 v39, 0x3f167918, v9
	v_fmamk_f32 v43, v9, 0x3f737871, v6
	v_dual_fmac_f32 v6, 0xbf737871, v9 :: v_dual_add_f32 v9, v37, v31
	s_delay_alu instid0(VALU_DEP_4) | instskip(NEXT) | instid1(VALU_DEP_4)
	v_fmac_f32_e32 v41, 0x3e9e377a, v4
	v_dual_fmac_f32 v39, 0x3e9e377a, v4 :: v_dual_add_f32 v4, v5, v38
	s_delay_alu instid0(VALU_DEP_4) | instskip(NEXT) | instid1(VALU_DEP_4)
	v_fmac_f32_e32 v43, 0xbf167918, v10
	v_fma_f32 v40, -0.5, v9, v7
	v_dual_add_f32 v9, v7, v35 :: v_dual_fmac_f32 v6, 0x3f167918, v10
	s_delay_alu instid0(VALU_DEP_4) | instskip(SKIP_1) | instid1(VALU_DEP_3)
	v_add_f32_e32 v4, v4, v33
	v_dual_sub_f32 v10, v36, v34 :: v_dual_sub_f32 v5, v38, v33
	v_add_f32_e32 v9, v9, v37
	v_fmac_f32_e32 v7, -0.5, v11
	s_delay_alu instid0(VALU_DEP_4) | instskip(NEXT) | instid1(VALU_DEP_3)
	v_dual_add_f32 v33, v4, v34 :: v_dual_sub_f32 v4, v35, v37
	v_dual_fmamk_f32 v42, v10, 0x3f737871, v40 :: v_dual_add_f32 v9, v9, v31
	v_fmac_f32_e32 v40, 0xbf737871, v10
	v_fmac_f32_e32 v43, 0x3e9e377a, v8
	;; [unrolled: 1-line block ×3, first 2 shown]
	s_delay_alu instid0(VALU_DEP_4)
	v_fmac_f32_e32 v42, 0x3f167918, v5
	v_add_f32_e32 v34, v9, v32
	v_sub_f32_e32 v9, v37, v35
	v_sub_f32_e32 v35, v32, v31
	v_dual_sub_f32 v31, v31, v32 :: v_dual_fmamk_f32 v44, v5, 0xbf737871, v7
	v_fmac_f32_e32 v40, 0xbf167918, v5
	s_delay_alu instid0(VALU_DEP_3) | instskip(NEXT) | instid1(VALU_DEP_3)
	v_dual_fmac_f32 v7, 0x3f737871, v5 :: v_dual_add_f32 v8, v4, v35
	v_add_f32_e32 v9, v9, v31
	v_add_f32_e32 v4, v29, v25
	v_sub_f32_e32 v5, v28, v29
	s_delay_alu instid0(VALU_DEP_4)
	v_dual_sub_f32 v11, v18, v25 :: v_dual_fmac_f32 v42, 0x3e9e377a, v8
	v_fmac_f32_e32 v40, 0x3e9e377a, v8
	v_fmac_f32_e32 v44, 0x3f167918, v10
	v_add_f32_e32 v8, v28, v18
	v_fmac_f32_e32 v7, 0xbf167918, v10
	v_fmac_f32_e32 v0, 0x3f737871, v49
	v_fma_f32 v4, -0.5, v4, v2
	v_add_f32_e32 v5, v5, v11
	v_sub_f32_e32 v11, v30, v22
	v_add_f32_e32 v31, v2, v28
	v_fma_f32 v2, -0.5, v8, v2
	v_fmac_f32_e32 v44, 0x3e9e377a, v9
	v_fmac_f32_e32 v7, 0x3e9e377a, v9
	v_sub_f32_e32 v9, v27, v24
	v_fmac_f32_e32 v1, 0xbf737871, v51
	v_fmac_f32_e32 v0, 0x3f167918, v50
	v_fmamk_f32 v8, v11, 0xbf737871, v4
	v_sub_f32_e32 v32, v25, v18
	v_fmamk_f32 v10, v9, 0x3f737871, v2
	v_fmac_f32_e32 v2, 0xbf737871, v9
	v_fmac_f32_e32 v1, 0xbf167918, v100
	;; [unrolled: 1-line block ×9, first 2 shown]
	v_dual_fmac_f32 v4, 0x3f167918, v9 :: v_dual_sub_f32 v9, v29, v28
	ds_store_b64 v101, v[0:1] offset:288
	scratch_load_b32 v0, off, off offset:244 ; 4-byte Folded Reload
	v_dual_add_f32 v11, v3, v30 :: v_dual_fmac_f32 v4, 0x3e9e377a, v5
	v_dual_add_f32 v32, v9, v32 :: v_dual_add_f32 v9, v31, v29
	v_add_f32_e32 v5, v27, v24
	s_delay_alu instid0(VALU_DEP_3) | instskip(NEXT) | instid1(VALU_DEP_3)
	v_add_f32_e32 v11, v11, v27
	v_dual_sub_f32 v31, v28, v18 :: v_dual_fmac_f32 v10, 0x3e9e377a, v32
	s_delay_alu instid0(VALU_DEP_4) | instskip(SKIP_4) | instid1(VALU_DEP_3)
	v_add_f32_e32 v9, v9, v25
	v_sub_f32_e32 v25, v29, v25
	v_add_f32_e32 v29, v30, v22
	v_add_f32_e32 v11, v11, v24
	v_fma_f32 v5, -0.5, v5, v3
	v_dual_fmac_f32 v2, 0x3e9e377a, v32 :: v_dual_fmac_f32 v3, -0.5, v29
	v_dual_sub_f32 v29, v30, v27 :: v_dual_sub_f32 v30, v27, v30
	v_dual_add_f32 v27, v9, v18 :: v_dual_sub_f32 v18, v22, v24
	v_add_f32_e32 v28, v11, v22
	v_dual_sub_f32 v22, v24, v22 :: v_dual_fmamk_f32 v9, v31, 0x3f737871, v5
	v_fmamk_f32 v11, v25, 0xbf737871, v3
	v_fmac_f32_e32 v3, 0x3f737871, v25
	v_dual_fmac_f32 v5, 0xbf737871, v31 :: v_dual_add_f32 v18, v29, v18
	s_delay_alu instid0(VALU_DEP_4) | instskip(NEXT) | instid1(VALU_DEP_4)
	v_dual_fmac_f32 v9, 0x3f167918, v25 :: v_dual_add_f32 v22, v30, v22
	v_fmac_f32_e32 v11, 0x3f167918, v31
	s_delay_alu instid0(VALU_DEP_4) | instskip(NEXT) | instid1(VALU_DEP_4)
	v_fmac_f32_e32 v3, 0xbf167918, v31
	v_fmac_f32_e32 v5, 0xbf167918, v25
	s_delay_alu instid0(VALU_DEP_4)
	v_fmac_f32_e32 v9, 0x3e9e377a, v18
	s_waitcnt vmcnt(0)
	ds_store_2addr_b64 v0, v[33:34], v[41:42] offset1:9
	ds_store_2addr_b64 v0, v[43:44], v[6:7] offset0:18 offset1:27
	ds_store_b64 v0, v[39:40] offset:288
	scratch_load_b32 v0, off, off offset:256 ; 4-byte Folded Reload
	v_fmac_f32_e32 v11, 0x3e9e377a, v22
	v_fmac_f32_e32 v3, 0x3e9e377a, v22
	;; [unrolled: 1-line block ×3, first 2 shown]
	s_waitcnt vmcnt(0)
	ds_store_2addr_b64 v0, v[27:28], v[8:9] offset1:9
	ds_store_2addr_b64 v0, v[10:11], v[2:3] offset0:18 offset1:27
	ds_store_b64 v0, v[4:5] offset:288
	s_waitcnt lgkmcnt(0)
	s_barrier
	buffer_gl0_inv
	ds_load_2addr_b64 v[100:103], v21 offset0:66 offset1:129
	ds_load_2addr_b64 v[28:31], v26 offset0:64 offset1:163
	;; [unrolled: 1-line block ×6, first 2 shown]
	ds_load_b64 v[0:1], v255 offset:11808
	ds_load_2addr_b64 v[36:39], v20 offset0:98 offset1:161
	ds_load_2addr_b64 v[32:35], v16 offset0:164 offset1:227
	ds_load_2addr_b64 v[20:23], v255 offset1:63
	ds_load_2addr_b64 v[16:19], v255 offset0:126 offset1:225
	s_and_saveexec_b32 s1, s0
	s_cbranch_execz .LBB0_27
; %bb.26:
	v_add_nc_u32_e32 v2, 0x500, v255
	v_add_nc_u32_e32 v3, 0x1380, v255
	;; [unrolled: 1-line block ×3, first 2 shown]
	ds_load_2addr_b64 v[8:11], v2 offset0:29 offset1:254
	ds_load_2addr_b64 v[2:5], v3 offset0:15 offset1:240
	;; [unrolled: 1-line block ×3, first 2 shown]
	ds_load_b64 v[228:229], v255 offset:12312
.LBB0_27:
	s_or_b32 exec_lo, exec_lo, s1
	s_waitcnt lgkmcnt(0)
	v_mul_f32_e32 v6, v65, v19
	v_mul_f32_e32 v7, v65, v18
	;; [unrolled: 1-line block ×3, first 2 shown]
	v_dual_mul_f32 v67, v67, v100 :: v_dual_mul_f32 v104, v89, v31
	s_delay_alu instid0(VALU_DEP_4) | instskip(NEXT) | instid1(VALU_DEP_3)
	v_fmac_f32_e32 v6, v64, v18
	v_dual_mul_f32 v18, v89, v30 :: v_dual_fmac_f32 v65, v66, v100
	s_delay_alu instid0(VALU_DEP_3)
	v_fmac_f32_e32 v104, v88, v30
	v_mul_f32_e32 v30, v91, v49
	v_fma_f32 v7, v64, v19, -v7
	v_fma_f32 v19, v66, v101, -v67
	v_mul_f32_e32 v67, v95, v41
	v_fma_f32 v18, v88, v31, -v18
	v_dual_mul_f32 v31, v91, v48 :: v_dual_mul_f32 v64, v93, v27
	v_mul_f32_e32 v66, v93, v26
	v_fmac_f32_e32 v30, v90, v48
	v_fmac_f32_e32 v67, v94, v40
	s_delay_alu instid0(VALU_DEP_4) | instskip(SKIP_3) | instid1(VALU_DEP_3)
	v_fma_f32 v31, v90, v49, -v31
	v_dual_mul_f32 v49, v87, v103 :: v_dual_fmac_f32 v64, v92, v26
	v_fma_f32 v26, v92, v27, -v66
	v_dual_mul_f32 v27, v95, v40 :: v_dual_mul_f32 v40, v85, v45
	v_dual_fmac_f32 v49, v86, v102 :: v_dual_mul_f32 v48, v85, v44
	v_mul_f32_e32 v66, v87, v102
	s_delay_alu instid0(VALU_DEP_3) | instskip(NEXT) | instid1(VALU_DEP_4)
	v_fma_f32 v27, v94, v41, -v27
	v_fmac_f32_e32 v40, v84, v44
	s_barrier
	v_fma_f32 v41, v84, v45, -v48
	v_fma_f32 v44, v86, v103, -v66
	v_mul_f32_e32 v45, v73, v37
	v_mul_f32_e32 v48, v73, v36
	;; [unrolled: 1-line block ×5, first 2 shown]
	v_fmac_f32_e32 v45, v72, v36
	v_fma_f32 v36, v72, v37, -v48
	v_fmac_f32_e32 v66, v74, v50
	v_fma_f32 v37, v74, v51, -v73
	v_fmac_f32_e32 v75, v68, v32
	v_mul_f32_e32 v32, v69, v32
	v_dual_mul_f32 v48, v71, v43 :: v_dual_mul_f32 v69, v77, v46
	v_dual_mul_f32 v50, v71, v42 :: v_dual_mul_f32 v51, v77, v47
	s_delay_alu instid0(VALU_DEP_3) | instskip(NEXT) | instid1(VALU_DEP_3)
	v_fma_f32 v32, v68, v33, -v32
	v_fmac_f32_e32 v48, v70, v42
	s_delay_alu instid0(VALU_DEP_4)
	v_fma_f32 v42, v76, v47, -v69
	v_mul_f32_e32 v69, v97, v35
	v_fmac_f32_e32 v51, v76, v46
	v_mul_f32_e32 v47, v81, v39
	v_fma_f32 v33, v70, v43, -v50
	v_mul_f32_e32 v43, v79, v29
	v_mul_f32_e32 v46, v79, v28
	;; [unrolled: 1-line block ×3, first 2 shown]
	v_dual_mul_f32 v68, v83, v25 :: v_dual_fmac_f32 v69, v96, v34
	s_delay_alu instid0(VALU_DEP_4)
	v_fmac_f32_e32 v43, v78, v28
	v_fmac_f32_e32 v47, v80, v38
	v_fma_f32 v46, v78, v29, -v46
	v_dual_mul_f32 v28, v97, v34 :: v_dual_mul_f32 v29, v99, v0
	v_fmac_f32_e32 v68, v82, v24
	v_mul_f32_e32 v70, v99, v1
	v_fma_f32 v50, v80, v39, -v50
	s_delay_alu instid0(VALU_DEP_4)
	v_fma_f32 v72, v96, v35, -v28
	v_fma_f32 v73, v98, v1, -v29
	v_add_f32_e32 v1, v7, v27
	v_mul_f32_e32 v24, v83, v24
	v_sub_f32_e32 v7, v7, v27
	v_sub_f32_e32 v27, v65, v64
	v_fmac_f32_e32 v70, v98, v0
	v_add_f32_e32 v0, v6, v67
	v_fma_f32 v71, v82, v25, -v24
	v_dual_add_f32 v24, v65, v64 :: v_dual_add_f32 v25, v19, v26
	v_dual_sub_f32 v19, v19, v26 :: v_dual_sub_f32 v6, v6, v67
	v_dual_add_f32 v26, v104, v30 :: v_dual_sub_f32 v29, v30, v104
	s_delay_alu instid0(VALU_DEP_3) | instskip(NEXT) | instid1(VALU_DEP_4)
	v_add_f32_e32 v30, v24, v0
	v_dual_sub_f32 v34, v24, v0 :: v_dual_sub_f32 v35, v25, v1
	v_add_f32_e32 v28, v18, v31
	s_delay_alu instid0(VALU_DEP_4) | instskip(SKIP_2) | instid1(VALU_DEP_4)
	v_sub_f32_e32 v38, v0, v26
	v_add_f32_e32 v0, v29, v27
	v_dual_sub_f32 v64, v29, v27 :: v_dual_sub_f32 v27, v27, v6
	v_dual_sub_f32 v18, v31, v18 :: v_dual_sub_f32 v39, v1, v28
	v_dual_add_f32 v31, v25, v1 :: v_dual_sub_f32 v24, v26, v24
	v_sub_f32_e32 v25, v28, v25
	s_delay_alu instid0(VALU_DEP_3) | instskip(SKIP_1) | instid1(VALU_DEP_4)
	v_add_f32_e32 v1, v18, v19
	v_add_f32_e32 v26, v26, v30
	;; [unrolled: 1-line block ×3, first 2 shown]
	v_sub_f32_e32 v65, v18, v19
	v_dual_sub_f32 v29, v6, v29 :: v_dual_sub_f32 v18, v7, v18
	v_sub_f32_e32 v19, v19, v7
	v_add_f32_e32 v7, v1, v7
	v_add_f32_e32 v1, v21, v28
	v_mul_f32_e32 v21, 0x3f4a47b2, v39
	v_dual_mul_f32 v31, 0x3d64c772, v25 :: v_dual_add_f32 v6, v0, v6
	v_add_f32_e32 v0, v20, v26
	v_mul_f32_e32 v30, 0x3d64c772, v24
	v_mul_f32_e32 v39, 0x3f08b237, v65
	v_fmamk_f32 v25, v25, 0x3d64c772, v21
	v_fmamk_f32 v28, v28, 0xbf955555, v1
	v_mul_f32_e32 v20, 0x3f4a47b2, v38
	v_mul_f32_e32 v38, 0x3f08b237, v64
	v_fma_f32 v30, 0x3f3bfb3b, v34, -v30
	v_fma_f32 v31, 0x3f3bfb3b, v35, -v31
	v_mul_f32_e32 v64, 0xbf5ff5aa, v27
	v_fmamk_f32 v24, v24, 0x3d64c772, v20
	v_fma_f32 v20, 0xbf3bfb3b, v34, -v20
	v_fmamk_f32 v34, v29, 0xbeae86e6, v38
	v_fma_f32 v27, 0xbf5ff5aa, v27, -v38
	v_fma_f32 v38, 0xbf5ff5aa, v19, -v39
	;; [unrolled: 1-line block ×3, first 2 shown]
	v_fmamk_f32 v35, v18, 0xbeae86e6, v39
	v_fmac_f32_e32 v34, 0xbee1c552, v6
	s_delay_alu instid0(VALU_DEP_4)
	v_dual_fmac_f32 v27, 0xbee1c552, v6 :: v_dual_fmac_f32 v38, 0xbee1c552, v7
	v_fmamk_f32 v26, v26, 0xbf955555, v0
	v_mul_f32_e32 v65, 0xbf5ff5aa, v19
	v_fmac_f32_e32 v35, 0xbee1c552, v7
	buffer_gl0_inv
	v_fma_f32 v39, 0x3eae86e6, v18, -v65
	v_add_f32_e32 v65, v25, v28
	v_add_f32_e32 v25, v31, v28
	v_fma_f32 v29, 0x3eae86e6, v29, -v64
	s_delay_alu instid0(VALU_DEP_4) | instskip(SKIP_1) | instid1(VALU_DEP_4)
	v_dual_add_f32 v28, v21, v28 :: v_dual_fmac_f32 v39, 0xbee1c552, v7
	v_add_f32_e32 v31, v41, v33
	v_add_f32_e32 v21, v27, v25
	s_delay_alu instid0(VALU_DEP_4)
	v_fmac_f32_e32 v29, 0xbee1c552, v6
	v_sub_f32_e32 v25, v25, v27
	v_sub_f32_e32 v33, v41, v33
	v_add_f32_e32 v41, v36, v37
	v_sub_f32_e32 v7, v65, v34
	v_dual_add_f32 v27, v29, v28 :: v_dual_add_f32 v64, v24, v26
	v_add_f32_e32 v24, v30, v26
	v_add_f32_e32 v26, v20, v26
	v_sub_f32_e32 v19, v28, v29
	s_delay_alu instid0(VALU_DEP_4) | instskip(NEXT) | instid1(VALU_DEP_4)
	v_dual_add_f32 v29, v34, v65 :: v_dual_add_f32 v6, v35, v64
	v_sub_f32_e32 v20, v24, v38
	s_delay_alu instid0(VALU_DEP_4)
	v_add_f32_e32 v18, v39, v26
	v_add_f32_e32 v24, v38, v24
	v_sub_f32_e32 v26, v26, v39
	v_add_f32_e32 v38, v44, v32
	v_add_f32_e32 v30, v40, v48
	v_dual_sub_f32 v34, v40, v48 :: v_dual_sub_f32 v39, v49, v75
	v_sub_f32_e32 v32, v44, v32
	v_sub_f32_e32 v36, v37, v36
	v_add_f32_e32 v40, v45, v66
	v_sub_f32_e32 v44, v66, v45
	v_add_f32_e32 v45, v38, v31
	;; [unrolled: 2-line block ×3, first 2 shown]
	v_sub_f32_e32 v49, v38, v31
	v_dual_sub_f32 v31, v31, v41 :: v_dual_add_f32 v64, v44, v39
	s_delay_alu instid0(VALU_DEP_3) | instskip(SKIP_2) | instid1(VALU_DEP_4)
	v_dual_sub_f32 v66, v44, v39 :: v_dual_add_f32 v37, v35, v30
	v_sub_f32_e32 v39, v39, v34
	v_add_f32_e32 v65, v36, v32
	v_mul_f32_e32 v31, 0x3f4a47b2, v31
	s_delay_alu instid0(VALU_DEP_4)
	v_dual_add_f32 v37, v40, v37 :: v_dual_sub_f32 v48, v35, v30
	v_sub_f32_e32 v67, v36, v32
	v_dual_sub_f32 v30, v30, v40 :: v_dual_sub_f32 v35, v40, v35
	v_add_f32_e32 v40, v41, v45
	v_sub_f32_e32 v44, v34, v44
	v_sub_f32_e32 v36, v33, v36
	v_add_f32_e32 v22, v22, v37
	v_sub_f32_e32 v32, v32, v33
	v_add_f32_e32 v33, v65, v33
	v_dual_mul_f32 v65, 0x3f08b237, v67 :: v_dual_sub_f32 v38, v41, v38
	v_add_f32_e32 v23, v23, v40
	v_mul_f32_e32 v41, 0x3d64c772, v35
	s_delay_alu instid0(VALU_DEP_3) | instskip(NEXT) | instid1(VALU_DEP_3)
	v_mul_f32_e32 v45, 0x3d64c772, v38
	v_fmamk_f32 v40, v40, 0xbf955555, v23
	v_fmamk_f32 v38, v38, 0x3d64c772, v31
	v_mul_f32_e32 v30, 0x3f4a47b2, v30
	v_add_f32_e32 v34, v64, v34
	v_fma_f32 v45, 0x3f3bfb3b, v49, -v45
	v_fma_f32 v31, 0xbf3bfb3b, v49, -v31
	v_fmamk_f32 v49, v36, 0xbeae86e6, v65
	v_fmamk_f32 v35, v35, 0x3d64c772, v30
	;; [unrolled: 1-line block ×3, first 2 shown]
	v_mul_f32_e32 v67, 0xbf5ff5aa, v32
	v_fma_f32 v30, 0xbf3bfb3b, v48, -v30
	v_mul_f32_e32 v64, 0x3f08b237, v66
	v_fma_f32 v41, 0x3f3bfb3b, v48, -v41
	v_fmac_f32_e32 v49, 0xbee1c552, v33
	s_delay_alu instid0(VALU_DEP_3) | instskip(NEXT) | instid1(VALU_DEP_1)
	v_fmamk_f32 v48, v44, 0xbeae86e6, v64
	v_fmac_f32_e32 v48, 0xbee1c552, v34
	v_mul_f32_e32 v66, 0xbf5ff5aa, v39
	v_fma_f32 v39, 0xbf5ff5aa, v39, -v64
	v_fma_f32 v64, 0xbf5ff5aa, v32, -v65
	;; [unrolled: 1-line block ×3, first 2 shown]
	v_add_f32_e32 v67, v38, v40
	v_add_f32_e32 v38, v45, v40
	v_dual_add_f32 v40, v31, v40 :: v_dual_add_f32 v45, v42, v73
	s_delay_alu instid0(VALU_DEP_4) | instskip(NEXT) | instid1(VALU_DEP_4)
	v_fmac_f32_e32 v65, 0xbee1c552, v33
	v_sub_f32_e32 v31, v67, v48
	v_fma_f32 v44, 0x3eae86e6, v44, -v66
	v_dual_add_f32 v66, v35, v37 :: v_dual_fmac_f32 v39, 0xbee1c552, v34
	v_fmac_f32_e32 v64, 0xbee1c552, v33
	s_delay_alu instid0(VALU_DEP_3) | instskip(SKIP_4) | instid1(VALU_DEP_3)
	v_fmac_f32_e32 v44, 0xbee1c552, v34
	v_add_f32_e32 v36, v41, v37
	v_add_f32_e32 v41, v30, v37
	;; [unrolled: 1-line block ×3, first 2 shown]
	v_dual_sub_f32 v37, v38, v39 :: v_dual_add_f32 v30, v49, v66
	v_add_f32_e32 v32, v65, v41
	v_dual_sub_f32 v38, v41, v65 :: v_dual_add_f32 v41, v48, v67
	v_sub_f32_e32 v33, v40, v44
	v_dual_add_f32 v39, v44, v40 :: v_dual_sub_f32 v48, v51, v70
	v_dual_add_f32 v65, v50, v71 :: v_dual_add_f32 v44, v51, v70
	v_add_f32_e32 v51, v46, v72
	v_sub_f32_e32 v34, v36, v64
	v_add_f32_e32 v36, v64, v36
	v_sub_f32_e32 v40, v66, v49
	v_add_f32_e32 v49, v43, v69
	v_add_f32_e32 v67, v51, v45
	v_dual_sub_f32 v43, v43, v69 :: v_dual_sub_f32 v46, v46, v72
	v_sub_f32_e32 v69, v51, v45
	v_dual_sub_f32 v50, v71, v50 :: v_dual_sub_f32 v45, v45, v65
	v_sub_f32_e32 v51, v65, v51
	v_dual_add_f32 v65, v65, v67 :: v_dual_add_f32 v64, v47, v68
	s_delay_alu instid0(VALU_DEP_3) | instskip(SKIP_2) | instid1(VALU_DEP_4)
	v_add_f32_e32 v71, v50, v46
	v_dual_sub_f32 v47, v68, v47 :: v_dual_add_f32 v66, v49, v44
	v_dual_sub_f32 v68, v49, v44 :: v_dual_mul_f32 v45, 0x3f4a47b2, v45
	v_sub_f32_e32 v49, v64, v49
	v_sub_f32_e32 v42, v42, v73
	v_dual_sub_f32 v73, v50, v46 :: v_dual_sub_f32 v44, v44, v64
	v_dual_add_f32 v17, v17, v65 :: v_dual_add_f32 v70, v47, v43
	v_sub_f32_e32 v72, v47, v43
	s_delay_alu instid0(VALU_DEP_4) | instskip(SKIP_3) | instid1(VALU_DEP_3)
	v_dual_sub_f32 v47, v48, v47 :: v_dual_sub_f32 v50, v42, v50
	v_dual_sub_f32 v43, v43, v48 :: v_dual_add_f32 v64, v64, v66
	v_dual_mul_f32 v67, 0x3d64c772, v51 :: v_dual_sub_f32 v46, v46, v42
	v_dual_fmamk_f32 v65, v65, 0xbf955555, v17 :: v_dual_add_f32 v42, v71, v42
	v_dual_mul_f32 v71, 0x3f08b237, v73 :: v_dual_add_f32 v16, v16, v64
	v_fmamk_f32 v51, v51, 0x3d64c772, v45
	s_delay_alu instid0(VALU_DEP_4)
	v_fma_f32 v67, 0x3f3bfb3b, v69, -v67
	v_mul_f32_e32 v44, 0x3f4a47b2, v44
	v_fma_f32 v45, 0xbf3bfb3b, v69, -v45
	v_fmamk_f32 v69, v50, 0xbeae86e6, v71
	v_dual_mul_f32 v73, 0xbf5ff5aa, v46 :: v_dual_add_f32 v74, v51, v65
	v_dual_add_f32 v51, v67, v65 :: v_dual_add_f32 v48, v70, v48
	s_delay_alu instid0(VALU_DEP_4) | instskip(NEXT) | instid1(VALU_DEP_4)
	v_dual_mul_f32 v70, 0x3f08b237, v72 :: v_dual_add_f32 v65, v45, v65
	v_fmac_f32_e32 v69, 0xbee1c552, v42
	v_fmamk_f32 v64, v64, 0xbf955555, v16
	v_dual_mul_f32 v66, 0x3d64c772, v49 :: v_dual_fmamk_f32 v49, v49, 0x3d64c772, v44
	v_fma_f32 v44, 0xbf3bfb3b, v68, -v44
	v_fma_f32 v50, 0x3eae86e6, v50, -v73
	;; [unrolled: 1-line block ×3, first 2 shown]
	s_delay_alu instid0(VALU_DEP_4)
	v_add_f32_e32 v73, v49, v64
	v_fma_f32 v66, 0x3f3bfb3b, v68, -v66
	v_fmamk_f32 v68, v47, 0xbeae86e6, v70
	v_fma_f32 v70, 0xbf5ff5aa, v43, -v70
	v_mul_f32_e32 v72, 0xbf5ff5aa, v43
	v_fmac_f32_e32 v50, 0xbee1c552, v42
	s_delay_alu instid0(VALU_DEP_3) | instskip(SKIP_1) | instid1(VALU_DEP_1)
	v_dual_fmac_f32 v71, 0xbee1c552, v42 :: v_dual_fmac_f32 v70, 0xbee1c552, v48
	v_fmac_f32_e32 v68, 0xbee1c552, v48
	v_sub_f32_e32 v43, v74, v68
	v_add_f32_e32 v49, v66, v64
	v_fma_f32 v72, 0x3eae86e6, v47, -v72
	v_dual_add_f32 v47, v70, v51 :: v_dual_add_f32 v64, v44, v64
	v_add_f32_e32 v42, v69, v73
	s_delay_alu instid0(VALU_DEP_4) | instskip(NEXT) | instid1(VALU_DEP_4)
	v_sub_f32_e32 v46, v49, v71
	v_fmac_f32_e32 v72, 0xbee1c552, v48
	v_add_f32_e32 v48, v71, v49
	v_dual_sub_f32 v49, v51, v70 :: v_dual_add_f32 v44, v50, v64
	s_delay_alu instid0(VALU_DEP_3)
	v_dual_sub_f32 v50, v64, v50 :: v_dual_sub_f32 v45, v65, v72
	v_add_f32_e32 v51, v72, v65
	v_dual_sub_f32 v64, v73, v69 :: v_dual_add_f32 v65, v68, v74
	ds_store_2addr_b64 v236, v[0:1], v[6:7] offset1:45
	ds_store_2addr_b64 v236, v[18:19], v[20:21] offset0:90 offset1:135
	ds_store_2addr_b64 v236, v[24:25], v[26:27] offset0:180 offset1:225
	ds_store_b64 v236, v[28:29] offset:2160
	ds_store_2addr_b64 v237, v[22:23], v[30:31] offset1:45
	ds_store_2addr_b64 v237, v[32:33], v[34:35] offset0:90 offset1:135
	ds_store_2addr_b64 v237, v[36:37], v[38:39] offset0:180 offset1:225
	ds_store_b64 v237, v[40:41] offset:2160
	ds_store_2addr_b64 v238, v[16:17], v[42:43] offset1:45
	ds_store_2addr_b64 v238, v[44:45], v[46:47] offset0:90 offset1:135
	ds_store_2addr_b64 v238, v[48:49], v[50:51] offset0:180 offset1:225
	ds_store_b64 v238, v[64:65] offset:2160
	s_and_saveexec_b32 s1, s0
	s_cbranch_execz .LBB0_29
; %bb.28:
	v_dual_mul_f32 v0, v53, v11 :: v_dual_mul_f32 v1, v59, v13
	v_dual_mul_f32 v6, v57, v5 :: v_dual_mul_f32 v7, v55, v3
	;; [unrolled: 1-line block ×3, first 2 shown]
	s_delay_alu instid0(VALU_DEP_3) | instskip(NEXT) | instid1(VALU_DEP_3)
	v_fmac_f32_e32 v1, v58, v12
	v_dual_fmac_f32 v6, v56, v4 :: v_dual_fmac_f32 v7, v54, v2
	s_delay_alu instid0(VALU_DEP_3) | instskip(NEXT) | instid1(VALU_DEP_4)
	v_fmac_f32_e32 v16, v60, v14
	v_dual_fmac_f32 v0, v52, v10 :: v_dual_fmac_f32 v17, v62, v228
	v_mul_f32_e32 v10, v53, v10
	s_delay_alu instid0(VALU_DEP_3) | instskip(SKIP_1) | instid1(VALU_DEP_4)
	v_dual_sub_f32 v18, v1, v6 :: v_dual_sub_f32 v19, v7, v16
	v_mul_f32_e32 v4, v57, v4
	v_dual_mul_f32 v20, v63, v228 :: v_dual_sub_f32 v21, v0, v17
	s_delay_alu instid0(VALU_DEP_4) | instskip(NEXT) | instid1(VALU_DEP_4)
	v_fma_f32 v10, v52, v11, -v10
	v_dual_mul_f32 v11, v59, v12 :: v_dual_sub_f32 v22, v18, v19
	s_delay_alu instid0(VALU_DEP_4) | instskip(NEXT) | instid1(VALU_DEP_4)
	v_fma_f32 v4, v56, v5, -v4
	v_sub_f32_e32 v23, v21, v18
	v_fma_f32 v20, v62, v229, -v20
	s_delay_alu instid0(VALU_DEP_4) | instskip(SKIP_3) | instid1(VALU_DEP_3)
	v_fma_f32 v5, v58, v13, -v11
	v_mul_f32_e32 v2, v55, v2
	v_dual_mul_f32 v22, 0x3f08b237, v22 :: v_dual_add_f32 v17, v17, v0
	v_add_f32_e32 v7, v16, v7
	v_fma_f32 v2, v54, v3, -v2
	v_dual_add_f32 v3, v18, v19 :: v_dual_mul_f32 v14, v61, v14
	s_delay_alu instid0(VALU_DEP_4) | instskip(SKIP_1) | instid1(VALU_DEP_3)
	v_fmamk_f32 v13, v23, 0xbeae86e6, v22
	v_sub_f32_e32 v19, v19, v21
	v_fma_f32 v12, v60, v15, -v14
	s_delay_alu instid0(VALU_DEP_4) | instskip(SKIP_1) | instid1(VALU_DEP_3)
	v_dual_add_f32 v14, v20, v10 :: v_dual_add_f32 v15, v3, v21
	v_dual_add_f32 v3, v4, v5 :: v_dual_sub_f32 v4, v5, v4
	v_dual_add_f32 v11, v12, v2 :: v_dual_sub_f32 v2, v2, v12
	s_delay_alu instid0(VALU_DEP_3) | instskip(NEXT) | instid1(VALU_DEP_3)
	v_fmac_f32_e32 v13, 0xbee1c552, v15
	v_sub_f32_e32 v24, v14, v3
	s_delay_alu instid0(VALU_DEP_3) | instskip(SKIP_2) | instid1(VALU_DEP_3)
	v_add_f32_e32 v18, v11, v14
	v_sub_f32_e32 v0, v3, v11
	v_sub_f32_e32 v11, v11, v14
	v_add_f32_e32 v18, v3, v18
	v_dual_mul_f32 v16, 0x3f4a47b2, v24 :: v_dual_add_f32 v3, v6, v1
	s_delay_alu instid0(VALU_DEP_2) | instskip(NEXT) | instid1(VALU_DEP_2)
	v_dual_add_f32 v6, v7, v17 :: v_dual_add_f32 v1, v9, v18
	v_dual_mul_f32 v9, 0x3d64c772, v0 :: v_dual_fmamk_f32 v24, v0, 0x3d64c772, v16
	s_delay_alu instid0(VALU_DEP_3) | instskip(NEXT) | instid1(VALU_DEP_3)
	v_sub_f32_e32 v0, v17, v3
	v_add_f32_e32 v6, v3, v6
	v_dual_sub_f32 v12, v3, v7 :: v_dual_sub_f32 v3, v4, v2
	v_sub_f32_e32 v7, v7, v17
	s_delay_alu instid0(VALU_DEP_3) | instskip(SKIP_1) | instid1(VALU_DEP_4)
	v_dual_mul_f32 v5, 0x3f4a47b2, v0 :: v_dual_add_f32 v0, v8, v6
	v_fmamk_f32 v18, v18, 0xbf955555, v1
	v_mul_f32_e32 v25, 0x3f08b237, v3
	s_delay_alu instid0(VALU_DEP_3) | instskip(SKIP_3) | instid1(VALU_DEP_1)
	v_fmamk_f32 v6, v6, 0xbf955555, v0
	v_sub_f32_e32 v8, v10, v20
	v_fmamk_f32 v10, v12, 0x3d64c772, v5
	v_fma_f32 v5, 0xbf3bfb3b, v7, -v5
	v_add_f32_e32 v17, v5, v6
	v_fma_f32 v5, 0x3f3bfb3b, v11, -v9
	s_delay_alu instid0(VALU_DEP_1) | instskip(SKIP_1) | instid1(VALU_DEP_1)
	v_add_f32_e32 v9, v5, v18
	v_dual_add_f32 v21, v10, v6 :: v_dual_mul_f32 v10, 0xbf5ff5aa, v19
	v_fma_f32 v10, 0x3eae86e6, v23, -v10
	s_delay_alu instid0(VALU_DEP_1) | instskip(SKIP_4) | instid1(VALU_DEP_2)
	v_fmac_f32_e32 v10, 0xbee1c552, v15
	v_add_f32_e32 v20, v24, v18
	v_sub_f32_e32 v24, v8, v4
	v_add_f32_e32 v4, v4, v2
	v_sub_f32_e32 v2, v2, v8
	v_add_f32_e32 v4, v4, v8
	v_fma_f32 v8, 0xbf3bfb3b, v11, -v16
	scratch_load_b32 v11, off, off offset:248 ; 4-byte Folded Reload
	v_add_f32_e32 v16, v8, v18
	v_fma_f32 v8, 0xbf5ff5aa, v19, -v22
	s_delay_alu instid0(VALU_DEP_1) | instskip(SKIP_3) | instid1(VALU_DEP_3)
	v_dual_add_f32 v5, v10, v16 :: v_dual_fmac_f32 v8, 0xbee1c552, v15
	v_mul_f32_e32 v12, 0x3d64c772, v12
	v_add_f32_e32 v3, v13, v20
	v_sub_f32_e32 v13, v20, v13
	v_fma_f32 v7, 0x3f3bfb3b, v7, -v12
	s_delay_alu instid0(VALU_DEP_1)
	v_dual_add_f32 v6, v7, v6 :: v_dual_sub_f32 v7, v9, v8
	v_add_f32_e32 v9, v8, v9
	s_waitcnt vmcnt(0)
	v_lshlrev_b32_e32 v15, 3, v11
	v_sub_f32_e32 v11, v16, v10
	v_mul_f32_e32 v14, 0xbf5ff5aa, v2
	v_fmamk_f32 v26, v24, 0xbeae86e6, v25
	v_fma_f32 v2, 0xbf5ff5aa, v2, -v25
	v_add_nc_u32_e32 v16, 0x2800, v15
	s_delay_alu instid0(VALU_DEP_4) | instskip(NEXT) | instid1(VALU_DEP_4)
	v_fma_f32 v14, 0x3eae86e6, v24, -v14
	v_fmac_f32_e32 v26, 0xbee1c552, v4
	s_delay_alu instid0(VALU_DEP_4) | instskip(NEXT) | instid1(VALU_DEP_3)
	v_fmac_f32_e32 v2, 0xbee1c552, v4
	v_fmac_f32_e32 v14, 0xbee1c552, v4
	s_delay_alu instid0(VALU_DEP_3) | instskip(NEXT) | instid1(VALU_DEP_3)
	v_add_f32_e32 v12, v26, v21
	v_sub_f32_e32 v8, v6, v2
	v_add_f32_e32 v6, v2, v6
	v_sub_f32_e32 v2, v21, v26
	v_sub_f32_e32 v4, v17, v14
	v_add_f32_e32 v10, v14, v17
	v_add_nc_u32_e32 v14, 0x2400, v15
	ds_store_2addr_b64 v14, v[0:1], v[12:13] offset0:108 offset1:153
	ds_store_2addr_b64 v16, v[10:11], v[8:9] offset0:70 offset1:115
	;; [unrolled: 1-line block ×3, first 2 shown]
	ds_store_b64 v15, v[2:3] offset:12240
.LBB0_29:
	s_or_b32 exec_lo, exec_lo, s1
	v_add_nc_u32_e32 v21, 0x400, v255
	s_waitcnt lgkmcnt(0)
	s_barrier
	buffer_gl0_inv
	v_add_nc_u32_e32 v16, 0x2400, v255
	ds_load_2addr_b64 v[0:3], v21 offset0:124 offset1:187
	v_add_nc_u32_e32 v22, 0x1000, v255
	v_add_nc_u32_e32 v20, 0x800, v255
	;; [unrolled: 1-line block ×4, first 2 shown]
	s_mov_b32 s2, 0xae67b348
	s_mov_b32 s3, 0x3f44ce19
	s_mul_hi_u32 s1, s4, 0x20d
	s_waitcnt lgkmcnt(0)
	v_mul_f32_e32 v59, v137, v2
	ds_load_2addr_b64 v[4:7], v255 offset1:63
	ds_load_2addr_b64 v[12:15], v22 offset0:118 offset1:181
	v_add_nc_u32_e32 v18, 0x1800, v255
	v_mul_f32_e32 v58, v137, v3
	v_add_nc_u32_e32 v25, 0x1c00, v255
	ds_load_2addr_b64 v[8:11], v255 offset0:126 offset1:189
	v_fma_f32 v59, v136, v3, -v59
	s_waitcnt lgkmcnt(1)
	v_dual_fmac_f32 v58, v136, v2 :: v_dual_mul_f32 v61, v139, v12
	ds_load_2addr_b64 v[30:33], v18 offset0:114 offset1:177
	v_add_nc_u32_e32 v19, 0x2800, v255
	v_dual_mul_f32 v60, v139, v13 :: v_dual_add_nc_u32 v23, 0x2000, v255
	v_fma_f32 v61, v138, v13, -v61
	s_waitcnt lgkmcnt(0)
	v_mul_f32_e32 v2, v129, v32
	v_mul_f32_e32 v62, v129, v33
	ds_load_2addr_b64 v[26:29], v16 offset0:108 offset1:171
	ds_load_b64 v[16:17], v255 offset:12096
	ds_load_2addr_b64 v[34:37], v20 offset0:122 offset1:185
	ds_load_2addr_b64 v[38:41], v25 offset0:112 offset1:175
	;; [unrolled: 1-line block ×6, first 2 shown]
	v_fmac_f32_e32 v60, v138, v12
	v_fma_f32 v33, v128, v33, -v2
	v_fmac_f32_e32 v62, v128, v32
	s_waitcnt lgkmcnt(7)
	v_mul_f32_e32 v2, v131, v26
	v_mul_f32_e32 v13, v131, v27
	s_waitcnt lgkmcnt(5)
	v_mul_f32_e32 v3, v125, v34
	s_waitcnt lgkmcnt(4)
	;; [unrolled: 2-line block ×3, first 2 shown]
	v_dual_mul_f32 v72, v141, v37 :: v_dual_mul_f32 v73, v143, v43
	v_mul_f32_e32 v64, v127, v15
	v_fma_f32 v66, v124, v35, -v3
	v_mul_f32_e32 v3, v133, v38
	s_waitcnt lgkmcnt(2)
	v_mul_f32_e32 v77, v147, v47
	v_fmac_f32_e32 v73, v142, v42
	v_fmac_f32_e32 v64, v126, v14
	v_mul_f32_e32 v68, v135, v29
	v_fma_f32 v65, v130, v27, -v2
	v_fmac_f32_e32 v77, v146, v46
	s_waitcnt lgkmcnt(0)
	v_dual_mul_f32 v2, v127, v14 :: v_dual_mul_f32 v83, v153, v55
	v_fma_f32 v70, v132, v39, -v3
	v_dual_fmac_f32 v68, v134, v28 :: v_dual_mul_f32 v3, v143, v42
	v_mul_f32_e32 v12, v135, v28
	s_delay_alu instid0(VALU_DEP_4) | instskip(SKIP_1) | instid1(VALU_DEP_4)
	v_fma_f32 v69, v126, v15, -v2
	v_dual_mul_f32 v2, v141, v36 :: v_dual_fmac_f32 v13, v130, v26
	v_fma_f32 v76, v142, v43, -v3
	v_dual_mul_f32 v3, v147, v46 :: v_dual_fmac_f32 v72, v140, v36
	s_delay_alu instid0(VALU_DEP_3) | instskip(SKIP_1) | instid1(VALU_DEP_3)
	v_fma_f32 v75, v140, v37, -v2
	v_dual_mul_f32 v2, v145, v40 :: v_dual_sub_f32 v15, v59, v65
	v_fma_f32 v80, v146, v47, -v3
	v_mul_f32_e32 v3, v153, v54
	v_fma_f32 v71, v134, v29, -v12
	v_mul_f32_e32 v12, v161, v50
	v_mul_f32_e32 v29, v157, v53
	;; [unrolled: 1-line block ×4, first 2 shown]
	v_fma_f32 v79, v144, v41, -v2
	v_fma_f32 v81, v160, v51, -v12
	v_fmac_f32_e32 v29, v156, v52
	v_fmac_f32_e32 v78, v160, v50
	v_dual_mul_f32 v2, v163, v44 :: v_dual_add_f32 v35, v58, v13
	v_fma_f32 v86, v152, v55, -v3
	v_dual_mul_f32 v3, v157, v52 :: v_dual_mul_f32 v12, v159, v30
	v_mul_f32_e32 v88, v151, v17
	v_sub_f32_e32 v14, v58, v60
	v_sub_f32_e32 v32, v13, v62
	v_mul_f32_e32 v82, v163, v45
	v_dual_mul_f32 v28, v159, v31 :: v_dual_add_f32 v37, v61, v33
	v_fma_f32 v26, v156, v53, -v3
	v_mul_f32_e32 v3, v149, v56
	v_fmac_f32_e32 v88, v150, v16
	v_mul_f32_e32 v16, v151, v16
	v_add_f32_e32 v36, v14, v32
	v_fma_f32 v14, -0.5, v35, v4
	v_add_f32_e32 v35, v5, v59
	v_fma_f32 v27, v158, v31, -v12
	v_add_f32_e32 v12, v4, v58
	v_mul_f32_e32 v84, v155, v49
	v_fma_f32 v85, v162, v45, -v2
	v_mul_f32_e32 v2, v155, v48
	v_fma_f32 v32, v150, v17, -v16
	v_sub_f32_e32 v17, v62, v13
	v_fmac_f32_e32 v28, v158, v30
	v_fma_f32 v30, v148, v57, -v3
	v_add_f32_e32 v3, v12, v60
	v_fmac_f32_e32 v82, v162, v44
	v_fma_f32 v87, v154, v49, -v2
	v_add_f32_e32 v2, v60, v62
	v_fmac_f32_e32 v63, v124, v34
	v_dual_add_f32 v3, v3, v62 :: v_dual_fmac_f32 v84, v154, v48
	v_dual_mul_f32 v74, v145, v41 :: v_dual_fmac_f32 v83, v152, v54
	s_delay_alu instid0(VALU_DEP_4) | instskip(NEXT) | instid1(VALU_DEP_3)
	v_fma_f32 v2, -0.5, v2, v4
	v_dual_add_f32 v4, v3, v13 :: v_dual_add_f32 v39, v6, v63
	v_sub_f32_e32 v3, v60, v58
	s_delay_alu instid0(VALU_DEP_3) | instskip(SKIP_2) | instid1(VALU_DEP_4)
	v_dual_fmac_f32 v67, v132, v38 :: v_dual_fmamk_f32 v12, v15, 0xbf737871, v2
	v_fmac_f32_e32 v2, 0x3f737871, v15
	v_dual_fmac_f32 v74, v144, v40 :: v_dual_mul_f32 v31, v149, v57
	v_add_f32_e32 v17, v3, v17
	v_fma_f32 v3, -0.5, v37, v5
	v_dual_sub_f32 v37, v58, v13 :: v_dual_sub_f32 v40, v69, v70
	v_dual_sub_f32 v38, v65, v33 :: v_dual_sub_f32 v41, v68, v67
	s_delay_alu instid0(VALU_DEP_2) | instskip(SKIP_4) | instid1(VALU_DEP_4)
	v_dual_add_f32 v42, v63, v68 :: v_dual_fmamk_f32 v13, v37, 0x3f737871, v3
	v_sub_f32_e32 v34, v61, v33
	v_fmac_f32_e32 v3, 0xbf737871, v37
	v_sub_f32_e32 v45, v71, v70
	v_dual_add_f32 v43, v69, v70 :: v_dual_sub_f32 v48, v76, v79
	v_fmamk_f32 v16, v34, 0x3f737871, v14
	v_fmac_f32_e32 v14, 0xbf737871, v34
	v_fmac_f32_e32 v12, 0xbf167918, v34
	;; [unrolled: 1-line block ×3, first 2 shown]
	v_add_f32_e32 v34, v35, v61
	v_fmac_f32_e32 v16, 0xbf167918, v15
	v_dual_fmac_f32 v14, 0x3f167918, v15 :: v_dual_add_f32 v15, v59, v65
	s_delay_alu instid0(VALU_DEP_3) | instskip(NEXT) | instid1(VALU_DEP_3)
	v_dual_sub_f32 v35, v60, v62 :: v_dual_add_f32 v34, v34, v33
	v_fmac_f32_e32 v16, 0x3e9e377a, v17
	s_delay_alu instid0(VALU_DEP_3) | instskip(NEXT) | instid1(VALU_DEP_4)
	v_fmac_f32_e32 v14, 0x3e9e377a, v17
	v_fma_f32 v15, -0.5, v15, v5
	s_delay_alu instid0(VALU_DEP_4) | instskip(SKIP_2) | instid1(VALU_DEP_4)
	v_fmac_f32_e32 v3, 0xbf167918, v35
	v_dual_fmac_f32 v12, 0x3e9e377a, v36 :: v_dual_add_f32 v5, v34, v65
	v_fmac_f32_e32 v13, 0x3f167918, v35
	v_fmamk_f32 v17, v35, 0xbf737871, v15
	v_sub_f32_e32 v33, v33, v65
	v_fmac_f32_e32 v15, 0x3f737871, v35
	v_dual_fmac_f32 v31, v148, v56 :: v_dual_sub_f32 v56, v85, v86
	s_delay_alu instid0(VALU_DEP_4) | instskip(SKIP_4) | instid1(VALU_DEP_3)
	v_fmac_f32_e32 v17, 0x3f167918, v37
	v_fmac_f32_e32 v2, 0x3e9e377a, v36
	v_sub_f32_e32 v36, v59, v61
	v_dual_fmac_f32 v15, 0xbf167918, v37 :: v_dual_sub_f32 v52, v75, v76
	v_dual_add_f32 v50, v72, v77 :: v_dual_add_f32 v55, v10, v78
	v_add_f32_e32 v34, v36, v38
	v_sub_f32_e32 v36, v61, v59
	v_add_f32_e32 v38, v64, v67
	v_add_f32_e32 v47, v8, v72
	;; [unrolled: 1-line block ×3, first 2 shown]
	v_fmac_f32_e32 v13, 0x3e9e377a, v34
	v_dual_fmac_f32 v3, 0x3e9e377a, v34 :: v_dual_add_f32 v34, v39, v64
	v_dual_sub_f32 v39, v63, v64 :: v_dual_add_f32 v36, v36, v33
	v_fma_f32 v33, -0.5, v38, v6
	v_fma_f32 v6, -0.5, v42, v6
	s_delay_alu instid0(VALU_DEP_3) | instskip(SKIP_1) | instid1(VALU_DEP_3)
	v_dual_add_f32 v34, v34, v67 :: v_dual_add_f32 v41, v39, v41
	v_sub_f32_e32 v38, v66, v71
	v_dual_add_f32 v42, v7, v66 :: v_dual_fmamk_f32 v39, v40, 0x3f737871, v6
	s_delay_alu instid0(VALU_DEP_3) | instskip(NEXT) | instid1(VALU_DEP_3)
	v_dual_add_f32 v37, v34, v68 :: v_dual_sub_f32 v34, v64, v63
	v_fmamk_f32 v35, v38, 0xbf737871, v33
	v_fmac_f32_e32 v33, 0x3f737871, v38
	v_sub_f32_e32 v49, v77, v74
	v_sub_f32_e32 v53, v80, v79
	v_add_f32_e32 v54, v82, v83
	s_delay_alu instid0(VALU_DEP_4) | instskip(SKIP_1) | instid1(VALU_DEP_4)
	v_dual_sub_f32 v60, v81, v85 :: v_dual_fmac_f32 v33, 0x3f167918, v40
	v_add_f32_e32 v58, v78, v84
	v_dual_add_f32 v52, v52, v53 :: v_dual_sub_f32 v53, v79, v80
	s_delay_alu instid0(VALU_DEP_3)
	v_dual_add_f32 v62, v28, v31 :: v_dual_fmac_f32 v33, 0x3e9e377a, v41
	v_fmac_f32_e32 v39, 0xbf167918, v38
	v_fmac_f32_e32 v17, 0x3e9e377a, v36
	;; [unrolled: 1-line block ×3, first 2 shown]
	v_sub_f32_e32 v36, v67, v68
	v_sub_f32_e32 v61, v87, v86
	;; [unrolled: 1-line block ×3, first 2 shown]
	v_add_f32_e32 v59, v85, v86
	v_add_f32_e32 v65, v29, v88
	;; [unrolled: 1-line block ×3, first 2 shown]
	v_fma_f32 v34, -0.5, v43, v7
	v_sub_f32_e32 v43, v64, v67
	v_dual_add_f32 v60, v60, v61 :: v_dual_sub_f32 v61, v86, v87
	s_delay_alu instid0(VALU_DEP_4) | instskip(SKIP_3) | instid1(VALU_DEP_3)
	v_fmac_f32_e32 v39, 0x3e9e377a, v44
	v_fmac_f32_e32 v35, 0xbf167918, v40
	;; [unrolled: 1-line block ×3, first 2 shown]
	v_add_f32_e32 v40, v66, v71
	v_dual_sub_f32 v64, v88, v31 :: v_dual_fmac_f32 v35, 0x3e9e377a, v41
	s_delay_alu instid0(VALU_DEP_3) | instskip(NEXT) | instid1(VALU_DEP_3)
	v_dual_fmac_f32 v6, 0x3f167918, v38 :: v_dual_sub_f32 v41, v66, v69
	v_fmac_f32_e32 v7, -0.5, v40
	s_delay_alu instid0(VALU_DEP_2) | instskip(NEXT) | instid1(VALU_DEP_3)
	v_fmac_f32_e32 v6, 0x3e9e377a, v44
	v_dual_add_f32 v44, v41, v45 :: v_dual_sub_f32 v45, v70, v71
	v_add_f32_e32 v36, v42, v69
	v_sub_f32_e32 v42, v63, v68
	v_fmamk_f32 v40, v43, 0xbf737871, v7
	v_fmac_f32_e32 v7, 0x3f737871, v43
	v_sub_f32_e32 v41, v69, v66
	v_add_f32_e32 v38, v36, v70
	v_fmamk_f32 v36, v42, 0x3f737871, v34
	v_fmac_f32_e32 v34, 0xbf737871, v42
	v_fmac_f32_e32 v40, 0x3f167918, v42
	;; [unrolled: 1-line block ×3, first 2 shown]
	s_delay_alu instid0(VALU_DEP_4) | instskip(NEXT) | instid1(VALU_DEP_4)
	v_dual_add_f32 v45, v41, v45 :: v_dual_fmac_f32 v36, 0x3f167918, v43
	v_dual_fmac_f32 v34, 0xbf167918, v43 :: v_dual_sub_f32 v63, v29, v28
	s_delay_alu instid0(VALU_DEP_2) | instskip(NEXT) | instid1(VALU_DEP_2)
	v_dual_fmac_f32 v7, 0x3e9e377a, v45 :: v_dual_fmac_f32 v36, 0x3e9e377a, v44
	v_fmac_f32_e32 v34, 0x3e9e377a, v44
	v_add_f32_e32 v44, v47, v73
	v_sub_f32_e32 v47, v72, v73
	v_dual_add_f32 v63, v63, v64 :: v_dual_sub_f32 v64, v28, v29
	s_delay_alu instid0(VALU_DEP_3) | instskip(NEXT) | instid1(VALU_DEP_3)
	v_add_f32_e32 v42, v44, v74
	v_add_f32_e32 v44, v47, v49
	v_dual_add_f32 v46, v73, v74 :: v_dual_sub_f32 v49, v74, v77
	s_delay_alu instid0(VALU_DEP_1) | instskip(SKIP_2) | instid1(VALU_DEP_2)
	v_fma_f32 v41, -0.5, v46, v8
	v_sub_f32_e32 v46, v75, v80
	v_fma_f32 v8, -0.5, v50, v8
	v_fmamk_f32 v43, v46, 0xbf737871, v41
	v_fmac_f32_e32 v41, 0x3f737871, v46
	s_delay_alu instid0(VALU_DEP_3) | instskip(SKIP_1) | instid1(VALU_DEP_4)
	v_fmamk_f32 v47, v48, 0x3f737871, v8
	v_fmac_f32_e32 v8, 0xbf737871, v48
	v_dual_fmac_f32 v43, 0xbf167918, v48 :: v_dual_add_f32 v38, v38, v71
	s_delay_alu instid0(VALU_DEP_4) | instskip(SKIP_3) | instid1(VALU_DEP_2)
	v_fmac_f32_e32 v41, 0x3f167918, v48
	v_fmac_f32_e32 v40, 0x3e9e377a, v45
	v_dual_add_f32 v45, v42, v77 :: v_dual_sub_f32 v42, v73, v72
	v_fmac_f32_e32 v47, 0xbf167918, v46
	v_add_f32_e32 v49, v42, v49
	v_fma_f32 v42, -0.5, v51, v9
	v_sub_f32_e32 v51, v73, v74
	s_delay_alu instid0(VALU_DEP_3) | instskip(SKIP_1) | instid1(VALU_DEP_1)
	v_fmac_f32_e32 v47, 0x3e9e377a, v49
	v_fmac_f32_e32 v8, 0x3f167918, v46
	v_dual_fmac_f32 v8, 0x3e9e377a, v49 :: v_dual_sub_f32 v49, v76, v75
	v_fmac_f32_e32 v43, 0x3e9e377a, v44
	v_fmac_f32_e32 v41, 0x3e9e377a, v44
	s_delay_alu instid0(VALU_DEP_3) | instskip(SKIP_4) | instid1(VALU_DEP_2)
	v_add_f32_e32 v53, v49, v53
	v_fma_f32 v49, -0.5, v54, v10
	v_sub_f32_e32 v54, v81, v87
	v_add_f32_e32 v50, v9, v75
	v_fma_f32 v10, -0.5, v58, v10
	v_add_f32_e32 v48, v50, v76
	v_sub_f32_e32 v50, v72, v77
	s_delay_alu instid0(VALU_DEP_2) | instskip(SKIP_1) | instid1(VALU_DEP_3)
	v_add_f32_e32 v46, v48, v79
	v_add_f32_e32 v48, v75, v80
	v_fmamk_f32 v44, v50, 0x3f737871, v42
	v_fmac_f32_e32 v42, 0xbf737871, v50
	s_delay_alu instid0(VALU_DEP_3) | instskip(NEXT) | instid1(VALU_DEP_3)
	v_fma_f32 v9, -0.5, v48, v9
	v_fmac_f32_e32 v44, 0x3f167918, v51
	s_delay_alu instid0(VALU_DEP_3) | instskip(NEXT) | instid1(VALU_DEP_3)
	v_fmac_f32_e32 v42, 0xbf167918, v51
	v_fmamk_f32 v48, v51, 0xbf737871, v9
	v_fmac_f32_e32 v9, 0x3f737871, v51
	v_fmamk_f32 v51, v54, 0xbf737871, v49
	v_fmac_f32_e32 v49, 0x3f737871, v54
	s_delay_alu instid0(VALU_DEP_2) | instskip(NEXT) | instid1(VALU_DEP_2)
	v_fmac_f32_e32 v51, 0xbf167918, v56
	v_dual_fmac_f32 v48, 0x3f167918, v50 :: v_dual_fmac_f32 v49, 0x3f167918, v56
	v_fmac_f32_e32 v44, 0x3e9e377a, v52
	v_fmac_f32_e32 v42, 0x3e9e377a, v52
	v_add_f32_e32 v52, v55, v82
	s_delay_alu instid0(VALU_DEP_4) | instskip(SKIP_1) | instid1(VALU_DEP_3)
	v_dual_fmac_f32 v48, 0x3e9e377a, v53 :: v_dual_sub_f32 v55, v78, v82
	v_dual_fmac_f32 v9, 0xbf167918, v50 :: v_dual_add_f32 v46, v46, v80
	v_add_f32_e32 v50, v52, v83
	s_delay_alu instid0(VALU_DEP_3) | instskip(NEXT) | instid1(VALU_DEP_3)
	v_add_f32_e32 v52, v55, v57
	v_fmac_f32_e32 v9, 0x3e9e377a, v53
	v_fmamk_f32 v55, v56, 0x3f737871, v10
	s_delay_alu instid0(VALU_DEP_4) | instskip(SKIP_2) | instid1(VALU_DEP_4)
	v_add_f32_e32 v53, v50, v84
	v_dual_sub_f32 v50, v82, v78 :: v_dual_sub_f32 v57, v83, v84
	v_fmac_f32_e32 v10, 0xbf737871, v56
	v_fmac_f32_e32 v55, 0xbf167918, v54
	;; [unrolled: 1-line block ×4, first 2 shown]
	s_delay_alu instid0(VALU_DEP_4) | instskip(SKIP_2) | instid1(VALU_DEP_3)
	v_dual_add_f32 v57, v50, v57 :: v_dual_fmac_f32 v10, 0x3f167918, v54
	v_fma_f32 v50, -0.5, v59, v11
	v_sub_f32_e32 v59, v82, v83
	v_fmac_f32_e32 v55, 0x3e9e377a, v57
	s_delay_alu instid0(VALU_DEP_4) | instskip(SKIP_1) | instid1(VALU_DEP_1)
	v_fmac_f32_e32 v10, 0x3e9e377a, v57
	v_sub_f32_e32 v57, v85, v81
	v_add_f32_e32 v61, v57, v61
	v_fma_f32 v57, -0.5, v62, v0
	v_sub_f32_e32 v62, v26, v32
	v_add_f32_e32 v58, v11, v81
	s_delay_alu instid0(VALU_DEP_1) | instskip(SKIP_1) | instid1(VALU_DEP_2)
	v_add_f32_e32 v56, v58, v85
	v_sub_f32_e32 v58, v78, v84
	v_add_f32_e32 v54, v56, v86
	v_add_f32_e32 v56, v81, v87
	s_delay_alu instid0(VALU_DEP_1) | instskip(NEXT) | instid1(VALU_DEP_1)
	v_fmac_f32_e32 v11, -0.5, v56
	v_fmamk_f32 v56, v59, 0xbf737871, v11
	v_fmac_f32_e32 v11, 0x3f737871, v59
	s_delay_alu instid0(VALU_DEP_1) | instskip(NEXT) | instid1(VALU_DEP_1)
	v_fmac_f32_e32 v11, 0xbf167918, v58
	v_fmac_f32_e32 v11, 0x3e9e377a, v61
	v_fmamk_f32 v52, v58, 0x3f737871, v50
	v_fmac_f32_e32 v50, 0xbf737871, v58
	v_fmac_f32_e32 v56, 0x3f167918, v58
	s_delay_alu instid0(VALU_DEP_3) | instskip(NEXT) | instid1(VALU_DEP_3)
	v_fmac_f32_e32 v52, 0x3f167918, v59
	v_dual_fmac_f32 v50, 0xbf167918, v59 :: v_dual_add_f32 v59, v0, v29
	v_fma_f32 v0, -0.5, v65, v0
	v_sub_f32_e32 v65, v31, v88
	v_sub_f32_e32 v29, v29, v88
	s_delay_alu instid0(VALU_DEP_4) | instskip(SKIP_1) | instid1(VALU_DEP_4)
	v_fmac_f32_e32 v50, 0x3e9e377a, v60
	v_dual_add_f32 v58, v59, v28 :: v_dual_fmamk_f32 v59, v62, 0xbf737871, v57
	v_dual_fmac_f32 v57, 0x3f737871, v62 :: v_dual_add_f32 v64, v64, v65
	v_add_f32_e32 v65, v26, v32
	v_fmac_f32_e32 v52, 0x3e9e377a, v60
	v_sub_f32_e32 v28, v28, v31
	v_sub_f32_e32 v60, v27, v30
	v_add_f32_e32 v58, v58, v31
	v_fmac_f32_e32 v56, 0x3e9e377a, v61
	s_delay_alu instid0(VALU_DEP_3) | instskip(SKIP_1) | instid1(VALU_DEP_4)
	v_fmac_f32_e32 v59, 0xbf167918, v60
	v_dual_fmac_f32 v57, 0x3f167918, v60 :: v_dual_add_f32 v54, v54, v87
	v_dual_add_f32 v61, v58, v88 :: v_dual_add_f32 v58, v27, v30
	s_delay_alu instid0(VALU_DEP_3) | instskip(NEXT) | instid1(VALU_DEP_3)
	v_fmac_f32_e32 v59, 0x3e9e377a, v63
	v_fmac_f32_e32 v57, 0x3e9e377a, v63
	v_fmamk_f32 v63, v60, 0x3f737871, v0
	v_fmac_f32_e32 v0, 0xbf737871, v60
	v_add_f32_e32 v60, v1, v26
	v_fma_f32 v58, -0.5, v58, v1
	v_fmac_f32_e32 v1, -0.5, v65
	v_fmac_f32_e32 v63, 0xbf167918, v62
	v_fmac_f32_e32 v0, 0x3f167918, v62
	v_add_f32_e32 v62, v60, v27
	v_dual_fmamk_f32 v60, v29, 0x3f737871, v58 :: v_dual_sub_f32 v65, v32, v30
	s_delay_alu instid0(VALU_DEP_4) | instskip(NEXT) | instid1(VALU_DEP_3)
	v_fmac_f32_e32 v63, 0x3e9e377a, v64
	v_dual_fmac_f32 v0, 0x3e9e377a, v64 :: v_dual_add_f32 v31, v62, v30
	v_sub_f32_e32 v62, v26, v27
	v_fmac_f32_e32 v58, 0xbf737871, v29
	v_fmamk_f32 v64, v28, 0xbf737871, v1
	v_dual_sub_f32 v26, v27, v26 :: v_dual_sub_f32 v27, v30, v32
	v_fmac_f32_e32 v1, 0x3f737871, v28
	v_fmac_f32_e32 v60, 0x3f167918, v28
	v_add_f32_e32 v30, v62, v65
	v_fmac_f32_e32 v58, 0xbf167918, v28
	v_fmac_f32_e32 v64, 0x3f167918, v29
	v_dual_add_f32 v26, v26, v27 :: v_dual_fmac_f32 v1, 0xbf167918, v29
	v_add_f32_e32 v62, v31, v32
	v_fmac_f32_e32 v60, 0x3e9e377a, v30
	v_fmac_f32_e32 v58, 0x3e9e377a, v30
	s_delay_alu instid0(VALU_DEP_4)
	v_fmac_f32_e32 v64, 0x3e9e377a, v26
	v_fmac_f32_e32 v1, 0x3e9e377a, v26
	ds_store_b64 v255, v[12:13] offset:2520
	ds_store_b64 v255, v[16:17] offset:5040
	;; [unrolled: 1-line block ×4, first 2 shown]
	ds_store_2addr_b64 v255, v[4:5], v[37:38] offset1:63
	ds_store_2addr_b64 v20, v[35:36], v[43:44] offset0:122 offset1:185
	ds_store_2addr_b64 v22, v[39:40], v[47:48] offset0:181 offset1:244
	ds_store_2addr_b64 v25, v[6:7], v[8:9] offset0:112 offset1:175
	ds_store_2addr_b64 v19, v[33:34], v[41:42] offset0:43 offset1:106
	ds_store_2addr_b64 v255, v[45:46], v[53:54] offset0:126 offset1:189
	ds_store_b64 v255, v[10:11] offset:9072
	ds_store_b64 v255, v[49:50] offset:11592
	;; [unrolled: 1-line block ×4, first 2 shown]
	ds_store_2addr_b64 v24, v[51:52], v[59:60] offset0:120 offset1:183
	ds_store_b64 v255, v[63:64] offset:7056
	ds_store_b64 v255, v[0:1] offset:9576
	;; [unrolled: 1-line block ×3, first 2 shown]
	s_waitcnt lgkmcnt(0)
	s_barrier
	buffer_gl0_inv
	scratch_load_b64 v[6:7], off, off offset:136 ; 8-byte Folded Reload
	ds_load_2addr_b64 v[0:3], v255 offset1:63
	v_mad_u64_u32 v[30:31], null, s4, v242, 0
	s_waitcnt vmcnt(0) lgkmcnt(0)
	v_mul_f32_e32 v4, v7, v1
	v_mul_f32_e32 v5, v7, v0
	s_delay_alu instid0(VALU_DEP_2) | instskip(NEXT) | instid1(VALU_DEP_2)
	v_fmac_f32_e32 v4, v6, v0
	v_fma_f32 v5, v6, v1, -v5
	s_delay_alu instid0(VALU_DEP_2) | instskip(NEXT) | instid1(VALU_DEP_2)
	v_cvt_f64_f32_e32 v[0:1], v4
	v_cvt_f64_f32_e32 v[12:13], v5
	ds_load_2addr_b64 v[4:7], v22 offset0:13 offset1:76
	ds_load_2addr_b64 v[8:11], v23 offset0:26 offset1:89
	s_clause 0x4
	scratch_load_b64 v[36:37], off, off offset:112
	scratch_load_b64 v[48:49], off, off offset:144
	;; [unrolled: 1-line block ×5, first 2 shown]
	s_waitcnt lgkmcnt(1)
	v_mul_f32_e32 v15, v225, v4
	v_mul_f32_e32 v14, v225, v5
	s_waitcnt lgkmcnt(0)
	v_mul_f32_e32 v24, v223, v9
	v_dual_mul_f32 v25, v223, v8 :: v_dual_mul_f32 v40, v221, v11
	v_fma_f32 v15, v224, v5, -v15
	v_fmac_f32_e32 v14, v224, v4
	s_delay_alu instid0(VALU_DEP_4) | instskip(NEXT) | instid1(VALU_DEP_4)
	v_fmac_f32_e32 v24, v222, v8
	v_fmac_f32_e32 v40, v220, v10
	s_delay_alu instid0(VALU_DEP_4) | instskip(NEXT) | instid1(VALU_DEP_4)
	v_cvt_f64_f32_e32 v[16:17], v15
	v_cvt_f64_f32_e32 v[4:5], v14
	v_fma_f32 v14, v222, v9, -v25
	v_cvt_f64_f32_e32 v[8:9], v24
	v_mad_u64_u32 v[24:25], null, s6, v219, 0
	v_mov_b32_e32 v15, v31
	s_delay_alu instid0(VALU_DEP_4) | instskip(SKIP_3) | instid1(VALU_DEP_1)
	v_cvt_f64_f32_e32 v[28:29], v14
	v_mul_f64 v[0:1], v[0:1], s[2:3]
	v_mul_f64 v[12:13], v[12:13], s[2:3]
	v_mov_b32_e32 v14, v25
	v_mad_u64_u32 v[25:26], null, s7, v219, v[14:15]
	s_delay_alu instid0(VALU_DEP_1) | instskip(NEXT) | instid1(VALU_DEP_1)
	v_lshlrev_b64 v[34:35], 3, v[24:25]
	v_add_co_u32 v34, s0, s8, v34
	s_delay_alu instid0(VALU_DEP_1)
	v_add_co_ci_u32_e64 v35, s0, s9, v35, s0
	v_mad_u64_u32 v[26:27], null, s5, v242, v[15:16]
	v_mul_f64 v[4:5], v[4:5], s[2:3]
	v_mul_f64 v[8:9], v[8:9], s[2:3]
	;; [unrolled: 1-line block ×4, first 2 shown]
	v_mov_b32_e32 v31, v26
	ds_load_2addr_b64 v[24:27], v22 offset0:139 offset1:202
	v_cvt_f32_f64_e32 v32, v[0:1]
	v_cvt_f32_f64_e32 v33, v[12:13]
	ds_load_2addr_b64 v[12:15], v255 offset0:126 offset1:189
	v_lshlrev_b64 v[30:31], 3, v[30:31]
	s_delay_alu instid0(VALU_DEP_1) | instskip(NEXT) | instid1(VALU_DEP_1)
	v_add_co_u32 v30, s0, v34, v30
	v_add_co_ci_u32_e64 v31, s0, v35, v31, s0
	s_mul_i32 s0, s5, 0x20d
	s_delay_alu instid0(SALU_CYCLE_1) | instskip(SKIP_1) | instid1(SALU_CYCLE_1)
	s_add_i32 s1, s1, s0
	s_mul_i32 s0, s4, 0x20d
	s_lshl_b64 s[6:7], s[0:1], 3
	s_mul_i32 s1, s5, 0xfffffc25
	v_cvt_f32_f64_e32 v8, v[8:9]
	v_cvt_f32_f64_e32 v9, v[28:29]
	global_store_b64 v[30:31], v[32:33], off
	v_cvt_f32_f64_e32 v32, v[4:5]
	v_cvt_f32_f64_e32 v33, v[16:17]
	s_waitcnt vmcnt(4)
	v_mul_f32_e32 v0, v37, v3
	s_waitcnt vmcnt(3) lgkmcnt(1)
	v_mul_f32_e32 v44, v49, v25
	v_mul_f32_e32 v45, v49, v24
	scratch_load_b64 v[49:50], off, off offset:152 ; 8-byte Folded Reload
	v_mul_f32_e32 v1, v37, v2
	v_fmac_f32_e32 v0, v36, v2
	s_waitcnt vmcnt(3)
	v_mul_f32_e32 v38, v42, v7
	s_waitcnt vmcnt(2) lgkmcnt(0)
	v_dual_mul_f32 v39, v42, v6 :: v_dual_mul_f32 v42, v47, v13
	v_fma_f32 v22, v36, v3, -v1
	v_cvt_f64_f32_e32 v[36:37], v0
	ds_load_2addr_b64 v[0:3], v23 offset0:152 offset1:215
	v_fmac_f32_e32 v38, v41, v6
	v_fmac_f32_e32 v42, v46, v12
	v_mul_f32_e32 v12, v47, v12
	v_fma_f32 v39, v41, v7, -v39
	v_fmac_f32_e32 v44, v48, v24
	v_cvt_f64_f32_e32 v[6:7], v38
	v_fma_f32 v45, v48, v25, -v45
	v_fma_f32 v12, v46, v13, -v12
	v_cvt_f64_f32_e32 v[22:23], v22
	v_mul_f32_e32 v41, v221, v10
	v_cvt_f64_f32_e32 v[38:39], v39
	v_cvt_f64_f32_e32 v[42:43], v42
	;; [unrolled: 1-line block ×4, first 2 shown]
	v_fma_f32 v41, v220, v11, -v41
	v_cvt_f64_f32_e32 v[10:11], v40
	s_delay_alu instid0(VALU_DEP_2)
	v_cvt_f64_f32_e32 v[40:41], v41
	v_mul_f64 v[16:17], v[36:37], s[2:3]
	v_mul_f64 v[28:29], v[6:7], s[2:3]
	ds_load_2addr_b64 v[4:7], v21 offset0:124 offset1:187
	v_mul_f64 v[22:23], v[22:23], s[2:3]
	v_mul_f64 v[34:35], v[38:39], s[2:3]
	;; [unrolled: 1-line block ×7, first 2 shown]
	v_cvt_f32_f64_e32 v16, v[16:17]
	v_cvt_f32_f64_e32 v17, v[22:23]
	;; [unrolled: 1-line block ×6, first 2 shown]
	s_waitcnt vmcnt(0) lgkmcnt(1)
	v_mul_f32_e32 v46, v50, v1
	v_mul_f32_e32 v47, v50, v0
	scratch_load_b64 v[50:51], off, off offset:72 ; 8-byte Folded Reload
	v_fmac_f32_e32 v46, v49, v0
	v_fma_f32 v47, v49, v1, -v47
	v_cvt_f64_f32_e32 v[0:1], v45
	s_delay_alu instid0(VALU_DEP_3) | instskip(NEXT) | instid1(VALU_DEP_3)
	v_cvt_f64_f32_e32 v[44:45], v46
	v_cvt_f64_f32_e32 v[46:47], v47
	s_delay_alu instid0(VALU_DEP_3) | instskip(NEXT) | instid1(VALU_DEP_3)
	v_mul_f64 v[0:1], v[0:1], s[2:3]
	v_mul_f64 v[40:41], v[44:45], s[2:3]
	s_delay_alu instid0(VALU_DEP_3) | instskip(NEXT) | instid1(VALU_DEP_3)
	v_mul_f64 v[42:43], v[46:47], s[2:3]
	v_cvt_f32_f64_e32 v13, v[0:1]
	s_delay_alu instid0(VALU_DEP_3) | instskip(NEXT) | instid1(VALU_DEP_3)
	v_cvt_f32_f64_e32 v23, v[40:41]
	v_cvt_f32_f64_e32 v24, v[42:43]
	s_waitcnt vmcnt(0)
	v_mul_f32_e32 v21, v51, v15
	v_mul_f32_e32 v48, v51, v14
	scratch_load_b64 v[51:52], off, off offset:128 ; 8-byte Folded Reload
	v_fmac_f32_e32 v21, v50, v14
	v_fma_f32 v44, v50, v15, -v48
	v_mul_f32_e32 v48, v55, v3
	s_delay_alu instid0(VALU_DEP_3) | instskip(NEXT) | instid1(VALU_DEP_3)
	v_cvt_f64_f32_e32 v[14:15], v21
	v_cvt_f64_f32_e32 v[44:45], v44
	s_delay_alu instid0(VALU_DEP_3) | instskip(SKIP_1) | instid1(VALU_DEP_4)
	v_fmac_f32_e32 v48, v54, v2
	v_mul_f32_e32 v2, v55, v2
	v_mul_f64 v[14:15], v[14:15], s[2:3]
	s_waitcnt vmcnt(0)
	v_mul_f32_e32 v49, v52, v27
	s_delay_alu instid0(VALU_DEP_1)
	v_fmac_f32_e32 v49, v51, v26
	v_mul_f32_e32 v26, v52, v26
	scratch_load_b64 v[52:53], off, off offset:88 ; 8-byte Folded Reload
	v_cvt_f64_f32_e32 v[46:47], v49
	v_fma_f32 v21, v51, v27, -v26
	v_cvt_f64_f32_e32 v[48:49], v48
	s_delay_alu instid0(VALU_DEP_2) | instskip(SKIP_2) | instid1(VALU_DEP_1)
	v_cvt_f64_f32_e32 v[26:27], v21
	v_fma_f32 v21, v54, v3, -v2
	v_add_co_u32 v2, s0, v30, s6
	v_add_co_ci_u32_e64 v3, s0, s7, v31, s0
	global_store_b64 v[2:3], v[32:33], off
	v_mul_f64 v[32:33], v[46:47], s[2:3]
	v_mul_f64 v[25:26], v[26:27], s[2:3]
	s_delay_alu instid0(VALU_DEP_2) | instskip(SKIP_3) | instid1(VALU_DEP_2)
	v_cvt_f32_f64_e32 v27, v[32:33]
	s_waitcnt vmcnt(0) lgkmcnt(0)
	v_mul_f32_e32 v50, v53, v5
	v_mul_f32_e32 v51, v53, v4
	v_fmac_f32_e32 v50, v52, v4
	s_delay_alu instid0(VALU_DEP_2) | instskip(SKIP_1) | instid1(VALU_DEP_1)
	v_fma_f32 v51, v52, v5, -v51
	v_add_co_u32 v52, s0, v2, s6
	v_add_co_ci_u32_e64 v53, s0, s7, v3, s0
	v_cvt_f64_f32_e32 v[4:5], v21
	s_mul_hi_u32 s0, s4, 0xfffffc25
	v_cvt_f32_f64_e32 v21, v[38:39]
	global_store_b64 v[52:53], v[8:9], off
	v_cvt_f32_f64_e32 v8, v[28:29]
	v_cvt_f32_f64_e32 v9, v[34:35]
	s_sub_i32 s0, s0, s4
	v_mul_f64 v[28:29], v[44:45], s[2:3]
	s_add_i32 s1, s0, s1
	s_mul_i32 s0, s4, 0xfffffc25
	v_mul_f64 v[34:35], v[48:49], s[2:3]
	s_lshl_b64 s[4:5], s[0:1], 3
	v_cvt_f64_f32_e32 v[30:31], v50
	v_add_co_u32 v0, s0, v52, s4
	s_delay_alu instid0(VALU_DEP_1) | instskip(SKIP_1) | instid1(VALU_DEP_3)
	v_add_co_ci_u32_e64 v1, s0, s5, v53, s0
	v_cvt_f64_f32_e32 v[50:51], v51
	v_add_co_u32 v36, s0, v0, s6
	s_delay_alu instid0(VALU_DEP_1) | instskip(SKIP_2) | instid1(VALU_DEP_1)
	v_add_co_ci_u32_e64 v37, s0, s7, v1, s0
	global_store_b64 v[0:1], v[16:17], off
	v_add_co_u32 v40, s0, v36, s6
	v_add_co_ci_u32_e64 v41, s0, s7, v37, s0
	ds_load_2addr_b64 v[0:3], v18 offset0:9 offset1:72
	v_add_co_u32 v16, s0, v40, s4
	s_delay_alu instid0(VALU_DEP_1) | instskip(NEXT) | instid1(VALU_DEP_2)
	v_add_co_ci_u32_e64 v17, s0, s5, v41, s0
	v_add_co_u32 v42, s0, v16, s6
	s_delay_alu instid0(VALU_DEP_1) | instskip(SKIP_3) | instid1(VALU_DEP_1)
	v_add_co_ci_u32_e64 v43, s0, s7, v17, s0
	v_mul_f64 v[4:5], v[4:5], s[2:3]
	global_store_b64 v[36:37], v[8:9], off
	v_add_co_u32 v36, s0, v42, s6
	v_add_co_ci_u32_e64 v37, s0, s7, v43, s0
	global_store_b64 v[40:41], v[10:11], off
	ds_load_2addr_b64 v[8:11], v19 offset0:22 offset1:85
	global_store_b64 v[16:17], v[21:22], off
	global_store_b64 v[42:43], v[12:13], off
	;; [unrolled: 1-line block ×3, first 2 shown]
	v_cvt_f32_f64_e32 v21, v[14:15]
	scratch_load_b64 v[14:15], off, off offset:96 ; 8-byte Folded Reload
	v_cvt_f32_f64_e32 v22, v[28:29]
	v_cvt_f32_f64_e32 v28, v[25:26]
	;; [unrolled: 1-line block ×3, first 2 shown]
	s_clause 0x1
	scratch_load_b64 v[33:34], off, off offset:80
	scratch_load_b64 v[46:47], off, off offset:40
	v_mul_f64 v[38:39], v[50:51], s[2:3]
	scratch_load_b64 v[50:51], off, off offset:32 ; 8-byte Folded Reload
	v_mul_f64 v[30:31], v[30:31], s[2:3]
	v_add_co_u32 v23, s0, v36, s4
	scratch_load_b64 v[35:36], off, off offset:16 ; 8-byte Folded Reload
	v_add_co_ci_u32_e64 v24, s0, s5, v37, s0
	scratch_load_b64 v[54:55], off, off     ; 8-byte Folded Reload
	v_cvt_f32_f64_e32 v26, v[4:5]
	v_cvt_f32_f64_e32 v29, v[30:31]
	;; [unrolled: 1-line block ×3, first 2 shown]
	s_waitcnt vmcnt(5) lgkmcnt(1)
	v_mul_f32_e32 v12, v15, v1
	v_mul_f32_e32 v13, v15, v0
	s_waitcnt vmcnt(4) lgkmcnt(0)
	v_mul_f32_e32 v5, v34, v9
	s_delay_alu instid0(VALU_DEP_3) | instskip(NEXT) | instid1(VALU_DEP_3)
	v_fmac_f32_e32 v12, v14, v0
	v_fma_f32 v4, v14, v1, -v13
	v_mul_f32_e32 v16, v34, v8
	s_delay_alu instid0(VALU_DEP_4) | instskip(NEXT) | instid1(VALU_DEP_4)
	v_fmac_f32_e32 v5, v33, v8
	v_cvt_f64_f32_e32 v[0:1], v12
	ds_load_2addr_b64 v[12:15], v20 offset0:122 offset1:185
	s_waitcnt vmcnt(3)
	v_mul_f32_e32 v20, v47, v3
	v_cvt_f64_f32_e32 v[31:32], v4
	v_fma_f32 v4, v33, v9, -v16
	v_cvt_f64_f32_e32 v[8:9], v5
	s_delay_alu instid0(VALU_DEP_4)
	v_fmac_f32_e32 v20, v46, v2
	v_mul_f32_e32 v2, v47, v2
	scratch_load_b64 v[47:48], off, off offset:48 ; 8-byte Folded Reload
	v_cvt_f64_f32_e32 v[33:34], v4
	v_cvt_f64_f32_e32 v[39:40], v20
	v_fma_f32 v2, v46, v3, -v2
	s_delay_alu instid0(VALU_DEP_1)
	v_cvt_f64_f32_e32 v[2:3], v2
	v_mul_f64 v[0:1], v[0:1], s[2:3]
	v_mul_f64 v[31:32], v[31:32], s[2:3]
	;; [unrolled: 1-line block ×6, first 2 shown]
	v_cvt_f32_f64_e32 v0, v[0:1]
	v_cvt_f32_f64_e32 v1, v[31:32]
	;; [unrolled: 1-line block ×4, first 2 shown]
	s_waitcnt vmcnt(0)
	v_mul_f32_e32 v20, v48, v11
	v_mul_f32_e32 v41, v48, v10
	s_clause 0x1
	scratch_load_b64 v[48:49], off, off offset:24
	scratch_load_b64 v[44:45], off, off offset:8
	v_mul_f32_e32 v17, v36, v7
	v_mul_f32_e32 v16, v36, v6
	v_fmac_f32_e32 v20, v47, v10
	v_fma_f32 v41, v47, v11, -v41
	s_delay_alu instid0(VALU_DEP_4) | instskip(NEXT) | instid1(VALU_DEP_4)
	v_fmac_f32_e32 v17, v35, v6
	v_fma_f32 v37, v35, v7, -v16
	ds_load_2addr_b64 v[4:7], v18 offset0:135 offset1:198
	v_cvt_f64_f32_e32 v[10:11], v20
	v_cvt_f64_f32_e32 v[35:36], v17
	ds_load_2addr_b64 v[16:19], v19 offset0:148 offset1:211
	v_cvt_f64_f32_e32 v[37:38], v37
	s_waitcnt lgkmcnt(0)
	v_mul_f32_e32 v46, v51, v17
	v_mul_f32_e32 v47, v51, v16
	s_delay_alu instid0(VALU_DEP_2) | instskip(NEXT) | instid1(VALU_DEP_2)
	v_fmac_f32_e32 v46, v50, v16
	v_fma_f32 v47, v50, v17, -v47
	v_mul_f64 v[10:11], v[10:11], s[2:3]
	v_mul_f64 v[35:36], v[35:36], s[2:3]
	;; [unrolled: 1-line block ×3, first 2 shown]
	s_delay_alu instid0(VALU_DEP_2) | instskip(NEXT) | instid1(VALU_DEP_2)
	v_cvt_f32_f64_e32 v34, v[35:36]
	v_cvt_f32_f64_e32 v35, v[37:38]
	;; [unrolled: 1-line block ×5, first 2 shown]
	s_waitcnt vmcnt(1)
	v_mul_f32_e32 v20, v49, v5
	s_waitcnt vmcnt(0)
	v_mul_f32_e32 v42, v45, v13
	v_mul_f32_e32 v43, v45, v12
	v_mul_f32_e32 v45, v49, v4
	v_dual_mul_f32 v49, v55, v15 :: v_dual_fmac_f32 v20, v48, v4
	s_delay_alu instid0(VALU_DEP_4) | instskip(NEXT) | instid1(VALU_DEP_4)
	v_fmac_f32_e32 v42, v44, v12
	v_fma_f32 v43, v44, v13, -v43
	s_delay_alu instid0(VALU_DEP_4) | instskip(NEXT) | instid1(VALU_DEP_4)
	v_fma_f32 v45, v48, v5, -v45
	v_fmac_f32_e32 v49, v54, v14
	v_mul_f32_e32 v14, v55, v14
	scratch_load_b64 v[55:56], off, off offset:56 ; 8-byte Folded Reload
	v_cvt_f64_f32_e32 v[4:5], v20
	v_cvt_f64_f32_e32 v[12:13], v41
	v_cvt_f64_f32_e32 v[41:42], v42
	v_cvt_f64_f32_e32 v[43:44], v43
	v_fma_f32 v14, v54, v15, -v14
	v_cvt_f64_f32_e32 v[16:17], v45
	v_cvt_f64_f32_e32 v[45:46], v46
	v_cvt_f64_f32_e32 v[47:48], v47
	v_cvt_f64_f32_e32 v[49:50], v49
	v_mul_f64 v[4:5], v[4:5], s[2:3]
	v_mul_f64 v[12:13], v[12:13], s[2:3]
	;; [unrolled: 1-line block ×3, first 2 shown]
	s_delay_alu instid0(VALU_DEP_3) | instskip(NEXT) | instid1(VALU_DEP_3)
	v_cvt_f32_f64_e32 v4, v[4:5]
	v_cvt_f32_f64_e32 v3, v[12:13]
	s_delay_alu instid0(VALU_DEP_3)
	v_cvt_f32_f64_e32 v5, v[16:17]
	s_waitcnt vmcnt(0)
	v_mul_f32_e32 v20, v56, v7
	v_mul_f32_e32 v51, v56, v6
	scratch_load_b64 v[56:57], off, off offset:64 ; 8-byte Folded Reload
	v_fmac_f32_e32 v20, v55, v6
	v_fma_f32 v51, v55, v7, -v51
	v_cvt_f64_f32_e32 v[6:7], v14
	v_add_co_u32 v55, s0, v23, s6
	s_delay_alu instid0(VALU_DEP_4) | instskip(NEXT) | instid1(VALU_DEP_3)
	v_cvt_f64_f32_e32 v[14:15], v20
	v_mul_f64 v[6:7], v[6:7], s[2:3]
	s_delay_alu instid0(VALU_DEP_2) | instskip(SKIP_3) | instid1(VALU_DEP_2)
	v_mul_f64 v[14:15], v[14:15], s[2:3]
	s_waitcnt vmcnt(0)
	v_mul_f32_e32 v52, v57, v19
	v_mul_f32_e32 v53, v57, v18
	v_fmac_f32_e32 v52, v56, v18
	s_delay_alu instid0(VALU_DEP_2) | instskip(SKIP_2) | instid1(VALU_DEP_4)
	v_fma_f32 v53, v56, v19, -v53
	v_cvt_f64_f32_e32 v[18:19], v51
	v_add_co_ci_u32_e64 v56, s0, s7, v24, s0
	v_cvt_f64_f32_e32 v[51:52], v52
	s_delay_alu instid0(VALU_DEP_4) | instskip(SKIP_1) | instid1(VALU_DEP_1)
	v_cvt_f64_f32_e32 v[53:54], v53
	v_add_co_u32 v57, s0, v55, s6
	v_add_co_ci_u32_e64 v58, s0, s7, v56, s0
	s_delay_alu instid0(VALU_DEP_2) | instskip(NEXT) | instid1(VALU_DEP_1)
	v_add_co_u32 v59, s0, v57, s4
	v_add_co_ci_u32_e64 v60, s0, s5, v58, s0
	global_store_b64 v[23:24], v[21:22], off
	global_store_b64 v[55:56], v[27:28], off
	;; [unrolled: 1-line block ×4, first 2 shown]
	v_mul_f64 v[20:21], v[41:42], s[2:3]
	v_mul_f64 v[22:23], v[43:44], s[2:3]
	;; [unrolled: 1-line block ×5, first 2 shown]
	v_add_co_u32 v30, s0, v59, s6
	s_delay_alu instid0(VALU_DEP_1) | instskip(NEXT) | instid1(VALU_DEP_2)
	v_add_co_ci_u32_e64 v31, s0, s7, v60, s0
	v_add_co_u32 v32, s0, v30, s6
	s_delay_alu instid0(VALU_DEP_1) | instskip(SKIP_2) | instid1(VALU_DEP_1)
	v_add_co_ci_u32_e64 v33, s0, s7, v31, s0
	global_store_b64 v[30:31], v[0:1], off
	v_add_co_u32 v36, s0, v32, s4
	v_add_co_ci_u32_e64 v37, s0, s5, v33, s0
	global_store_b64 v[32:33], v[8:9], off
	v_add_co_u32 v10, s0, v36, s6
	s_delay_alu instid0(VALU_DEP_1)
	v_add_co_ci_u32_e64 v11, s0, s7, v37, s0
	v_mul_f64 v[18:19], v[18:19], s[2:3]
	global_store_b64 v[36:37], v[34:35], off
	v_mul_f64 v[41:42], v[51:52], s[2:3]
	v_mul_f64 v[43:44], v[53:54], s[2:3]
	global_store_b64 v[10:11], v[38:39], off
	v_cvt_f32_f64_e32 v12, v[20:21]
	v_cvt_f32_f64_e32 v13, v[22:23]
	;; [unrolled: 1-line block ×8, first 2 shown]
	v_add_co_u32 v18, s0, v10, s6
	s_delay_alu instid0(VALU_DEP_1) | instskip(SKIP_2) | instid1(VALU_DEP_4)
	v_add_co_ci_u32_e64 v19, s0, s7, v11, s0
	v_cvt_f32_f64_e32 v14, v[41:42]
	v_cvt_f32_f64_e32 v15, v[43:44]
	v_add_co_u32 v0, s0, v18, s4
	s_delay_alu instid0(VALU_DEP_1) | instskip(SKIP_2) | instid1(VALU_DEP_1)
	v_add_co_ci_u32_e64 v1, s0, s5, v19, s0
	global_store_b64 v[18:19], v[2:3], off
	v_add_co_u32 v8, s0, v0, s6
	v_add_co_ci_u32_e64 v9, s0, s7, v1, s0
	global_store_b64 v[0:1], v[12:13], off
	v_add_co_u32 v22, s0, v8, s6
	s_delay_alu instid0(VALU_DEP_1) | instskip(NEXT) | instid1(VALU_DEP_2)
	v_add_co_ci_u32_e64 v23, s0, s7, v9, s0
	v_add_co_u32 v10, s0, v22, s4
	s_delay_alu instid0(VALU_DEP_1) | instskip(NEXT) | instid1(VALU_DEP_2)
	v_add_co_ci_u32_e64 v11, s0, s5, v23, s0
	;; [unrolled: 3-line block ×3, first 2 shown]
	v_add_co_u32 v0, s0, v2, s6
	s_delay_alu instid0(VALU_DEP_1)
	v_add_co_ci_u32_e64 v1, s0, s7, v3, s0
	global_store_b64 v[8:9], v[4:5], off
	global_store_b64 v[22:23], v[16:17], off
	;; [unrolled: 1-line block ×5, first 2 shown]
	s_and_b32 exec_lo, exec_lo, vcc_lo
	s_cbranch_execz .LBB0_31
; %bb.30:
	global_load_b64 v[2:3], v[212:213], off offset:4032
	ds_load_b64 v[4:5], v255 offset:4032
	ds_load_b64 v[6:7], v255 offset:8232
	;; [unrolled: 1-line block ×3, first 2 shown]
	v_add_co_u32 v0, vcc_lo, v0, s4
	v_add_co_ci_u32_e32 v1, vcc_lo, s5, v1, vcc_lo
	s_waitcnt vmcnt(0) lgkmcnt(2)
	v_mul_f32_e32 v10, v5, v3
	v_mul_f32_e32 v3, v4, v3
	s_delay_alu instid0(VALU_DEP_2) | instskip(NEXT) | instid1(VALU_DEP_2)
	v_fmac_f32_e32 v10, v4, v2
	v_fma_f32 v4, v2, v5, -v3
	s_delay_alu instid0(VALU_DEP_2) | instskip(NEXT) | instid1(VALU_DEP_2)
	v_cvt_f64_f32_e32 v[2:3], v10
	v_cvt_f64_f32_e32 v[4:5], v4
	s_delay_alu instid0(VALU_DEP_2) | instskip(NEXT) | instid1(VALU_DEP_2)
	v_mul_f64 v[2:3], v[2:3], s[2:3]
	v_mul_f64 v[4:5], v[4:5], s[2:3]
	s_delay_alu instid0(VALU_DEP_2) | instskip(NEXT) | instid1(VALU_DEP_2)
	v_cvt_f32_f64_e32 v2, v[2:3]
	v_cvt_f32_f64_e32 v3, v[4:5]
	global_store_b64 v[0:1], v[2:3], off
	global_load_b64 v[2:3], v[214:215], off offset:40
	v_add_co_u32 v0, vcc_lo, v0, s6
	v_add_co_ci_u32_e32 v1, vcc_lo, s7, v1, vcc_lo
	s_waitcnt vmcnt(0) lgkmcnt(1)
	v_mul_f32_e32 v4, v7, v3
	v_mul_f32_e32 v3, v6, v3
	s_delay_alu instid0(VALU_DEP_2) | instskip(NEXT) | instid1(VALU_DEP_2)
	v_fmac_f32_e32 v4, v6, v2
	v_fma_f32 v5, v2, v7, -v3
	s_delay_alu instid0(VALU_DEP_2) | instskip(NEXT) | instid1(VALU_DEP_2)
	v_cvt_f64_f32_e32 v[2:3], v4
	v_cvt_f64_f32_e32 v[4:5], v5
	s_delay_alu instid0(VALU_DEP_2) | instskip(NEXT) | instid1(VALU_DEP_2)
	v_mul_f64 v[2:3], v[2:3], s[2:3]
	v_mul_f64 v[4:5], v[4:5], s[2:3]
	s_delay_alu instid0(VALU_DEP_2) | instskip(NEXT) | instid1(VALU_DEP_2)
	v_cvt_f32_f64_e32 v2, v[2:3]
	v_cvt_f32_f64_e32 v3, v[4:5]
	global_store_b64 v[0:1], v[2:3], off
	scratch_load_b64 v[2:3], off, off offset:264 ; 8-byte Folded Reload
	v_add_co_u32 v0, vcc_lo, v0, s6
	v_add_co_ci_u32_e32 v1, vcc_lo, s7, v1, vcc_lo
	s_waitcnt vmcnt(0)
	global_load_b64 v[2:3], v[2:3], off offset:144
	s_waitcnt vmcnt(0) lgkmcnt(0)
	v_mul_f32_e32 v4, v9, v3
	v_mul_f32_e32 v3, v8, v3
	s_delay_alu instid0(VALU_DEP_2) | instskip(NEXT) | instid1(VALU_DEP_2)
	v_fmac_f32_e32 v4, v8, v2
	v_fma_f32 v5, v2, v9, -v3
	s_delay_alu instid0(VALU_DEP_2) | instskip(NEXT) | instid1(VALU_DEP_2)
	v_cvt_f64_f32_e32 v[2:3], v4
	v_cvt_f64_f32_e32 v[4:5], v5
	s_delay_alu instid0(VALU_DEP_2) | instskip(NEXT) | instid1(VALU_DEP_2)
	v_mul_f64 v[2:3], v[2:3], s[2:3]
	v_mul_f64 v[4:5], v[4:5], s[2:3]
	s_delay_alu instid0(VALU_DEP_2) | instskip(NEXT) | instid1(VALU_DEP_2)
	v_cvt_f32_f64_e32 v2, v[2:3]
	v_cvt_f32_f64_e32 v3, v[4:5]
	global_store_b64 v[0:1], v[2:3], off
.LBB0_31:
	s_nop 0
	s_sendmsg sendmsg(MSG_DEALLOC_VGPRS)
	s_endpgm
	.section	.rodata,"a",@progbits
	.p2align	6, 0x0
	.amdhsa_kernel bluestein_single_fwd_len1575_dim1_sp_op_CI_CI
		.amdhsa_group_segment_fixed_size 12600
		.amdhsa_private_segment_fixed_size 276
		.amdhsa_kernarg_size 104
		.amdhsa_user_sgpr_count 15
		.amdhsa_user_sgpr_dispatch_ptr 0
		.amdhsa_user_sgpr_queue_ptr 0
		.amdhsa_user_sgpr_kernarg_segment_ptr 1
		.amdhsa_user_sgpr_dispatch_id 0
		.amdhsa_user_sgpr_private_segment_size 0
		.amdhsa_wavefront_size32 1
		.amdhsa_uses_dynamic_stack 0
		.amdhsa_enable_private_segment 1
		.amdhsa_system_sgpr_workgroup_id_x 1
		.amdhsa_system_sgpr_workgroup_id_y 0
		.amdhsa_system_sgpr_workgroup_id_z 0
		.amdhsa_system_sgpr_workgroup_info 0
		.amdhsa_system_vgpr_workitem_id 0
		.amdhsa_next_free_vgpr 256
		.amdhsa_next_free_sgpr 16
		.amdhsa_reserve_vcc 1
		.amdhsa_float_round_mode_32 0
		.amdhsa_float_round_mode_16_64 0
		.amdhsa_float_denorm_mode_32 3
		.amdhsa_float_denorm_mode_16_64 3
		.amdhsa_dx10_clamp 1
		.amdhsa_ieee_mode 1
		.amdhsa_fp16_overflow 0
		.amdhsa_workgroup_processor_mode 1
		.amdhsa_memory_ordered 1
		.amdhsa_forward_progress 0
		.amdhsa_shared_vgpr_count 0
		.amdhsa_exception_fp_ieee_invalid_op 0
		.amdhsa_exception_fp_denorm_src 0
		.amdhsa_exception_fp_ieee_div_zero 0
		.amdhsa_exception_fp_ieee_overflow 0
		.amdhsa_exception_fp_ieee_underflow 0
		.amdhsa_exception_fp_ieee_inexact 0
		.amdhsa_exception_int_div_zero 0
	.end_amdhsa_kernel
	.text
.Lfunc_end0:
	.size	bluestein_single_fwd_len1575_dim1_sp_op_CI_CI, .Lfunc_end0-bluestein_single_fwd_len1575_dim1_sp_op_CI_CI
                                        ; -- End function
	.section	.AMDGPU.csdata,"",@progbits
; Kernel info:
; codeLenInByte = 30996
; NumSgprs: 18
; NumVgprs: 256
; ScratchSize: 276
; MemoryBound: 0
; FloatMode: 240
; IeeeMode: 1
; LDSByteSize: 12600 bytes/workgroup (compile time only)
; SGPRBlocks: 2
; VGPRBlocks: 31
; NumSGPRsForWavesPerEU: 18
; NumVGPRsForWavesPerEU: 256
; Occupancy: 5
; WaveLimiterHint : 1
; COMPUTE_PGM_RSRC2:SCRATCH_EN: 1
; COMPUTE_PGM_RSRC2:USER_SGPR: 15
; COMPUTE_PGM_RSRC2:TRAP_HANDLER: 0
; COMPUTE_PGM_RSRC2:TGID_X_EN: 1
; COMPUTE_PGM_RSRC2:TGID_Y_EN: 0
; COMPUTE_PGM_RSRC2:TGID_Z_EN: 0
; COMPUTE_PGM_RSRC2:TIDIG_COMP_CNT: 0
	.text
	.p2alignl 7, 3214868480
	.fill 96, 4, 3214868480
	.type	__hip_cuid_64c79e9774c952d7,@object ; @__hip_cuid_64c79e9774c952d7
	.section	.bss,"aw",@nobits
	.globl	__hip_cuid_64c79e9774c952d7
__hip_cuid_64c79e9774c952d7:
	.byte	0                               ; 0x0
	.size	__hip_cuid_64c79e9774c952d7, 1

	.ident	"AMD clang version 19.0.0git (https://github.com/RadeonOpenCompute/llvm-project roc-6.4.0 25133 c7fe45cf4b819c5991fe208aaa96edf142730f1d)"
	.section	".note.GNU-stack","",@progbits
	.addrsig
	.addrsig_sym __hip_cuid_64c79e9774c952d7
	.amdgpu_metadata
---
amdhsa.kernels:
  - .args:
      - .actual_access:  read_only
        .address_space:  global
        .offset:         0
        .size:           8
        .value_kind:     global_buffer
      - .actual_access:  read_only
        .address_space:  global
        .offset:         8
        .size:           8
        .value_kind:     global_buffer
      - .actual_access:  read_only
        .address_space:  global
        .offset:         16
        .size:           8
        .value_kind:     global_buffer
      - .actual_access:  read_only
        .address_space:  global
        .offset:         24
        .size:           8
        .value_kind:     global_buffer
      - .actual_access:  read_only
        .address_space:  global
        .offset:         32
        .size:           8
        .value_kind:     global_buffer
      - .offset:         40
        .size:           8
        .value_kind:     by_value
      - .address_space:  global
        .offset:         48
        .size:           8
        .value_kind:     global_buffer
      - .address_space:  global
        .offset:         56
        .size:           8
        .value_kind:     global_buffer
      - .address_space:  global
        .offset:         64
        .size:           8
        .value_kind:     global_buffer
      - .address_space:  global
        .offset:         72
        .size:           8
        .value_kind:     global_buffer
      - .offset:         80
        .size:           4
        .value_kind:     by_value
      - .address_space:  global
        .offset:         88
        .size:           8
        .value_kind:     global_buffer
      - .address_space:  global
        .offset:         96
        .size:           8
        .value_kind:     global_buffer
    .group_segment_fixed_size: 12600
    .kernarg_segment_align: 8
    .kernarg_segment_size: 104
    .language:       OpenCL C
    .language_version:
      - 2
      - 0
    .max_flat_workgroup_size: 63
    .name:           bluestein_single_fwd_len1575_dim1_sp_op_CI_CI
    .private_segment_fixed_size: 276
    .sgpr_count:     18
    .sgpr_spill_count: 0
    .symbol:         bluestein_single_fwd_len1575_dim1_sp_op_CI_CI.kd
    .uniform_work_group_size: 1
    .uses_dynamic_stack: false
    .vgpr_count:     256
    .vgpr_spill_count: 68
    .wavefront_size: 32
    .workgroup_processor_mode: 1
amdhsa.target:   amdgcn-amd-amdhsa--gfx1100
amdhsa.version:
  - 1
  - 2
...

	.end_amdgpu_metadata
